;; amdgpu-corpus repo=ROCm/aiter kind=harvested arch=n/a opt=n/a

/root/src/amdgpu-assembly/repos/ROCm__aiter/hsa/gfx950/fmoe/silu/fmoe_f16_pertokenMXfp4_g1u1_novs_silu_2tg_32x256.co:	file format elf64-amdgpu

Disassembly of section .text:

0000000000002e00 <_ZN5aiter48fmoe_f16_pertokenMXfp4_g1u1_novs_silu_2tg_32x256E>:
	s_and_b32 s1, s1, 0xffff                                   // 000000002E00: 8601FF01 0000FFFF
	s_load_dwordx2 s[8:9], s[0:1], 0x0                         // 000000002E08: C0060200 00000000
	s_load_dwordx2 s[20:21], s[0:1], 0x10                      // 000000002E10: C0060500 00000010
	s_load_dwordx2 s[24:25], s[0:1], 0x20                      // 000000002E18: C0060600 00000020
	s_load_dwordx2 s[50:51], s[0:1], 0x30                      // 000000002E20: C0060C80 00000030
	s_load_dwordx2 s[12:13], s[0:1], 0x40                      // 000000002E28: C0060300 00000040
	s_load_dwordx2 s[28:29], s[0:1], 0x50                      // 000000002E30: C0060700 00000050
	s_load_dwordx2 s[32:33], s[0:1], 0x60                      // 000000002E38: C0060800 00000060
	s_load_dwordx2 s[16:17], s[0:1], 0x70                      // 000000002E40: C0060400 00000070
	s_load_dwordx2 s[36:37], s[0:1], 0x80                      // 000000002E48: C0060900 00000080
	s_load_dwordx2 s[44:45], s[0:1], 0x90                      // 000000002E50: C0060B00 00000090
	s_load_dwordx2 s[40:41], s[0:1], 0xa0                      // 000000002E58: C0060A00 000000A0
	s_load_dwordx2 s[46:47], s[0:1], 0xb0                      // 000000002E60: C0060B80 000000B0
	s_load_dword s64, s[0:1], 0xc0                             // 000000002E68: C0021000 000000C0
	s_load_dword s65, s[0:1], 0xd0                             // 000000002E70: C0021040 000000D0
	s_load_dword s66, s[0:1], 0xe0                             // 000000002E78: C0021080 000000E0
	s_load_dword s67, s[0:1], 0xf0                             // 000000002E80: C00210C0 000000F0
	s_load_dword s68, s[0:1], 0x100                            // 000000002E88: C0021100 00000100
	s_load_dword s69, s[0:1], 0x110                            // 000000002E90: C0021140 00000110
	s_load_dword s70, s[0:1], 0x120                            // 000000002E98: C0021180 00000120
	s_load_dword s71, s[0:1], 0x130                            // 000000002EA0: C00211C0 00000130
	s_load_dword s72, s[0:1], 0x140                            // 000000002EA8: C0021200 00000140
	s_load_dword s73, s[0:1], 0x150                            // 000000002EB0: C0021240 00000150
	s_load_dword s74, s[0:1], 0x160                            // 000000002EB8: C0021280 00000160
	s_load_dword s75, s[0:1], 0x170                            // 000000002EC0: C00212C0 00000170
	s_load_dword s76, s[0:1], 0x180                            // 000000002EC8: C0021300 00000180
	v_lshrrev_b32_e32 v1, 10, v0                               // 000000002ED0: 2002008A
	v_lshrrev_b32_e32 v2, 10, v1                               // 000000002ED4: 2004028A
	v_and_b32_e32 v2, 0x3ff, v2                                // 000000002ED8: 260404FF 000003FF
	v_and_b32_e32 v1, 0x3ff, v1                                // 000000002EE0: 260202FF 000003FF
	v_and_b32_e32 v0, 0x3ff, v0                                // 000000002EE8: 260000FF 000003FF
	v_lshrrev_b32_e32 v3, 6, v0                                // 000000002EF0: 20060086
	v_and_b32_e32 v0, 63, v0                                   // 000000002EF4: 260000BF
	s_mov_b32 s2, s2                                           // 000000002EF8: BE820002
	s_mov_b32 s3, s3                                           // 000000002EFC: BE830003
	s_mov_b32 s4, s4                                           // 000000002F00: BE840004
	v_readfirstlane_b32 s7, v3                                 // 000000002F04: 7E0E0503
	s_waitcnt lgkmcnt(0)                                       // 000000002F08: BF8CC07F
	s_and_b32 s51, s51, 0xffff                                 // 000000002F0C: 8633FF33 0000FFFF
	s_load_dword s50, s[50:51], 0x0                            // 000000002F14: C0020C99 00000000
	s_and_b32 s45, s45, 0xffff                                 // 000000002F1C: 862DFF2D 0000FFFF
	s_and_b32 s47, s47, 0xffff                                 // 000000002F24: 862FFF2F 0000FFFF
	s_and_b32 s9, s9, 0xffff                                   // 000000002F2C: 8609FF09 0000FFFF
	s_mul_i32 s60, s66, s68                                    // 000000002F34: 923C4442
	s_mov_b32 s22, s60                                         // 000000002F38: BE96003C
	s_mov_b32 s26, -16                                         // 000000002F3C: BE9A00D0
	s_mov_b32 s14, -16                                         // 000000002F40: BE8E00D0
	s_mov_b32 s42, -16                                         // 000000002F44: BEAA00D0
	s_mov_b32 s30, -16                                         // 000000002F48: BE9E00D0
	s_mov_b32 s34, -16                                         // 000000002F4C: BEA200D0
	s_mov_b32 s38, -16                                         // 000000002F50: BEA600D0
	s_mov_b32 s18, -16                                         // 000000002F54: BE9200D0
	s_mul_i32 s60, s66, s71                                    // 000000002F58: 923C4742
	s_mov_b32 s10, s60                                         // 000000002F5C: BE8A003C
	s_mov_b32 s23, 0x20000                                     // 000000002F60: BE9700FF 00020000
	s_mov_b32 s27, 0x20000                                     // 000000002F68: BE9B00FF 00020000
	s_mov_b32 s15, 0x20000                                     // 000000002F70: BE8F00FF 00020000
	s_mov_b32 s43, 0x20000                                     // 000000002F78: BEAB00FF 00020000
	s_mov_b32 s31, 0x20000                                     // 000000002F80: BE9F00FF 00020000
	s_mov_b32 s35, 0x20000                                     // 000000002F88: BEA300FF 00020000
	s_mov_b32 s39, 0x20000                                     // 000000002F90: BEA700FF 00020000
	s_mov_b32 s19, 0x20000                                     // 000000002F98: BE9300FF 00020000
	s_mov_b32 s11, 0x20000                                     // 000000002FA0: BE8B00FF 00020000
	s_and_b32 s21, s21, 0xffff                                 // 000000002FA8: 8615FF15 0000FFFF
	s_and_b32 s25, s25, 0xffff                                 // 000000002FB0: 8619FF19 0000FFFF
	s_and_b32 s13, s13, 0xffff                                 // 000000002FB8: 860DFF0D 0000FFFF
	s_and_b32 s41, s41, 0xffff                                 // 000000002FC0: 8629FF29 0000FFFF
	s_and_b32 s29, s29, 0xffff                                 // 000000002FC8: 861DFF1D 0000FFFF
	s_and_b32 s33, s33, 0xffff                                 // 000000002FD0: 8621FF21 0000FFFF
	s_and_b32 s37, s37, 0xffff                                 // 000000002FD8: 8625FF25 0000FFFF
	s_and_b32 s17, s17, 0xffff                                 // 000000002FE0: 8611FF11 0000FFFF
	s_or_b32 s21, s21, 0x40000                                 // 000000002FE8: 8715FF15 00040000
	s_or_b32 s25, s25, 0x40000                                 // 000000002FF0: 8719FF19 00040000
	s_or_b32 s13, s13, 0x40000                                 // 000000002FF8: 870DFF0D 00040000
	s_or_b32 s41, s41, 0x40000                                 // 000000003000: 8729FF29 00040000
	s_or_b32 s29, s29, 0x40000                                 // 000000003008: 871DFF1D 00040000
	s_or_b32 s33, s33, 0x40000                                 // 000000003010: 8721FF21 00040000
	s_or_b32 s37, s37, 0x40000                                 // 000000003018: 8725FF25 00040000
	s_or_b32 s17, s17, 0x40000                                 // 000000003020: 8711FF11 00040000
	v_accvgpr_write_b32 a63, 0                                 // 000000003028: D3D9403F 18000080
	v_mov_b32_e32 v171, 0                                      // 000000003030: 7F560280
	s_waitcnt lgkmcnt(0)                                       // 000000003034: BF8CC07F
	s_mul_i32 s60, s3, 32                                      // 000000003038: 923CA003
	s_cmp_lt_i32 s60, s50                                      // 00000000303C: BF04323C
	s_cbranch_scc0 label_117A                                  // 000000003040: BF8410E9
	s_mov_b32 s80, 0                                           // 000000003044: BED00080
	s_mov_b32 s81, s64                                         // 000000003048: BED10040
	s_mul_i32 s60, s3, 4                                       // 00000000304C: 923C8403
	s_add_u32 s46, s60, s46                                    // 000000003050: 802E2E3C
	s_addc_u32 s47, 0, s47                                     // 000000003054: 822F2F80
	s_load_dword s5, s[46:47], 0x0                             // 000000003058: C0020157 00000000
	s_mul_i32 s60, s3, 32                                      // 000000003060: 923CA003
	s_lshr_b32 s61, s7, 1                                      // 000000003064: 8F3D8107
	s_mul_i32 s61, s61, 8                                      // 000000003068: 923D883D
	s_add_u32 s60, s61, s60                                    // 00000000306C: 803C3C3D
	s_and_b32 s61, s7, 1                                       // 000000003070: 863D8107
	s_mul_i32 s61, s61, 2                                      // 000000003074: 923D823D
	s_add_u32 s60, s61, s60                                    // 000000003078: 803C3C3D
	s_mul_i32 s60, 4, s60                                      // 00000000307C: 923C3C84
	s_add_u32 s44, s60, s44                                    // 000000003080: 802C2C3C
	s_addc_u32 s45, 0, s45                                     // 000000003084: 822D2D80
	s_load_dword s82, s[44:45], 0x0                            // 000000003088: C0021496 00000000
	s_load_dword s83, s[44:45], 0x4                            // 000000003090: C00214D6 00000004
	s_load_dword s84, s[44:45], 0x10                           // 000000003098: C0021516 00000010
	s_load_dword s85, s[44:45], 0x14                           // 0000000030A0: C0021556 00000014
	s_load_dword s86, s[44:45], 0x40                           // 0000000030A8: C0021596 00000040
	s_load_dword s87, s[44:45], 0x44                           // 0000000030B0: C00215D6 00000044
	s_load_dword s88, s[44:45], 0x50                           // 0000000030B8: C0021616 00000050
	s_load_dword s89, s[44:45], 0x54                           // 0000000030C0: C0021656 00000054
	s_waitcnt lgkmcnt(0)                                       // 0000000030C8: BF8CC07F
	s_and_b32 s82, s82, 0xffffff                               // 0000000030CC: 8652FF52 00FFFFFF
	s_mul_i32 s62, s82, s68                                    // 0000000030D4: 923E4452
	s_lshl_b32 s60, 0xff, 0                                    // 0000000030D8: 8E3C80FF 000000FF
	s_mov_b32 s61, 0                                           // 0000000030E0: BEBD0080
	s_mov_b64 exec, s[60:61]                                   // 0000000030E4: BEFE013C
	v_mov_b32_e32 v35, s62                                     // 0000000030E8: 7E46023E
	s_and_b32 s83, s83, 0xffffff                               // 0000000030EC: 8653FF53 00FFFFFF
	s_mul_i32 s62, s83, s68                                    // 0000000030F4: 923E4453
	s_lshl_b32 s60, 0xff, 8                                    // 0000000030F8: 8E3C88FF 000000FF
	s_mov_b64 exec, s[60:61]                                   // 000000003100: BEFE013C
	v_mov_b32_e32 v35, s62                                     // 000000003104: 7E46023E
	s_and_b32 s84, s84, 0xffffff                               // 000000003108: 8654FF54 00FFFFFF
	s_mul_i32 s62, s84, s68                                    // 000000003110: 923E4454
	s_lshl_b32 s60, 0xff, 16                                   // 000000003114: 8E3C90FF 000000FF
	s_mov_b64 exec, s[60:61]                                   // 00000000311C: BEFE013C
	v_mov_b32_e32 v35, s62                                     // 000000003120: 7E46023E
	s_and_b32 s85, s85, 0xffffff                               // 000000003124: 8655FF55 00FFFFFF
	s_mul_i32 s62, s85, s68                                    // 00000000312C: 923E4455
	s_lshl_b32 s60, 0xff, 24                                   // 000000003130: 8E3C98FF 000000FF
	s_mov_b64 exec, s[60:61]                                   // 000000003138: BEFE013C
	v_mov_b32_e32 v35, s62                                     // 00000000313C: 7E46023E
	s_and_b32 s86, s86, 0xffffff                               // 000000003140: 8656FF56 00FFFFFF
	s_mul_i32 s62, s86, s68                                    // 000000003148: 923E4456
	s_lshl_b32 s61, 0xff, 0                                    // 00000000314C: 8E3D80FF 000000FF
	s_mov_b32 s60, 0                                           // 000000003154: BEBC0080
	s_mov_b64 exec, s[60:61]                                   // 000000003158: BEFE013C
	v_mov_b32_e32 v35, s62                                     // 00000000315C: 7E46023E
	s_and_b32 s87, s87, 0xffffff                               // 000000003160: 8657FF57 00FFFFFF
	s_mul_i32 s62, s87, s68                                    // 000000003168: 923E4457
	s_lshl_b32 s61, 0xff, 8                                    // 00000000316C: 8E3D88FF 000000FF
	s_mov_b64 exec, s[60:61]                                   // 000000003174: BEFE013C
	v_mov_b32_e32 v35, s62                                     // 000000003178: 7E46023E
	s_and_b32 s88, s88, 0xffffff                               // 00000000317C: 8658FF58 00FFFFFF
	s_mul_i32 s62, s88, s68                                    // 000000003184: 923E4458
	s_lshl_b32 s61, 0xff, 16                                   // 000000003188: 8E3D90FF 000000FF
	s_mov_b64 exec, s[60:61]                                   // 000000003190: BEFE013C
	v_mov_b32_e32 v35, s62                                     // 000000003194: 7E46023E
	s_and_b32 s89, s89, 0xffffff                               // 000000003198: 8659FF59 00FFFFFF
	s_mul_i32 s62, s89, s68                                    // 0000000031A0: 923E4459
	s_lshl_b32 s61, 0xff, 24                                   // 0000000031A4: 8E3D98FF 000000FF
	s_mov_b64 exec, s[60:61]                                   // 0000000031AC: BEFE013C
	v_mov_b32_e32 v35, s62                                     // 0000000031B0: 7E46023E
	s_mov_b32 s60, -1                                          // 0000000031B4: BEBC00C1
	s_mov_b32 s61, -1                                          // 0000000031B8: BEBD00C1
	s_mov_b64 exec, s[60:61]                                   // 0000000031BC: BEFE013C
	v_and_b32_e64 v2, v0, 7                                    // 0000000031C0: D1130002 00010F00
	v_lshlrev_b32_e32 v2, 4, v2                                // 0000000031C8: 24040484
	v_add_u32_e32 v35, v35, v2                                 // 0000000031CC: 68460523
	s_mov_b32 s62, 0x80                                        // 0000000031D0: BEBE00FF 00000080
	v_add_u32_e64 v36, v35, s62                                // 0000000031D8: D1340024 00007D23
	v_lshlrev_b32_e32 v2, 2, v0                                // 0000000031E0: 24040082
	s_mul_i32 s60, s82, s71                                    // 0000000031E4: 923C4752
	v_add_u32_e64 v92, v2, s60                                 // 0000000031E8: D134005C 00007902
	v_mov_b32_e32 v93, 0                                       // 0000000031F0: 7EBA0280
	s_mul_i32 s60, s83, s71                                    // 0000000031F4: 923C4753
	v_add_u32_e64 v94, v2, s60                                 // 0000000031F8: D134005E 00007902
	v_mov_b32_e32 v95, 0                                       // 000000003200: 7EBE0280
	s_mul_i32 s60, s84, s71                                    // 000000003204: 923C4754
	v_add_u32_e64 v96, v2, s60                                 // 000000003208: D1340060 00007902
	v_mov_b32_e32 v97, 0                                       // 000000003210: 7EC20280
	s_mul_i32 s60, s85, s71                                    // 000000003214: 923C4755
	v_add_u32_e64 v98, v2, s60                                 // 000000003218: D1340062 00007902
	v_mov_b32_e32 v99, 0                                       // 000000003220: 7EC60280
	s_mul_i32 s60, s86, s71                                    // 000000003224: 923C4756
	v_add_u32_e64 v100, v2, s60                                // 000000003228: D1340064 00007902
	v_mov_b32_e32 v101, 0                                      // 000000003230: 7ECA0280
	s_mul_i32 s60, s87, s71                                    // 000000003234: 923C4757
	v_add_u32_e64 v102, v2, s60                                // 000000003238: D1340066 00007902
	v_mov_b32_e32 v103, 0                                      // 000000003240: 7ECE0280
	s_mul_i32 s60, s88, s71                                    // 000000003244: 923C4758
	v_add_u32_e64 v104, v2, s60                                // 000000003248: D1340068 00007902
	v_mov_b32_e32 v105, 0                                      // 000000003250: 7ED20280
	s_mul_i32 s60, s89, s71                                    // 000000003254: 923C4759
	v_add_u32_e64 v106, v2, s60                                // 000000003258: D134006A 00007902
	v_mov_b32_e32 v107, 0                                      // 000000003260: 7ED60280
	s_mul_i32 s60, s7, 0x420                                   // 000000003264: 923CFF07 00000420
	s_add_u32 s50, 0, s60                                      // 00000000326C: 80323C80
	s_add_u32 s51, 0x1080, s50                                 // 000000003270: 803332FF 00001080
	v_and_b32_e32 v2, 15, v0                                   // 000000003278: 2604008F
	v_lshrrev_b32_e32 v3, 3, v2                                // 00000000327C: 20060483
	v_mul_lo_u32 v3, 2, v3                                     // 000000003280: D2850003 00020682
	v_and_b32_e32 v2, 3, v0                                    // 000000003288: 26040083
	v_lshrrev_b32_e32 v4, 1, v2                                // 00000000328C: 20080481
	v_add_u32_e32 v2, v3, v4                                   // 000000003290: 68040903
	v_mul_i32_i24_e32 v6, 0x420, v2                            // 000000003294: 0C0C04FF 00000420
	v_and_b32_e32 v2, 7, v0                                    // 00000000329C: 26040087
	v_lshrrev_b32_e32 v3, 2, v2                                // 0000000032A0: 20060482
	v_mul_i32_i24_e32 v3, 0x100, v3                            // 0000000032A4: 0C0606FF 00000100
	v_and_b32_e32 v2, 1, v0                                    // 0000000032AC: 26040081
	v_mul_i32_i24_e32 v4, 0x80, v2                             // 0000000032B0: 0C0804FF 00000080
	v_add_u32_e32 v6, v3, v6                                   // 0000000032B8: 680C0D03
	v_add_u32_e32 v6, v4, v6                                   // 0000000032BC: 680C0D04
	v_lshrrev_b32_e32 v2, 4, v0                                // 0000000032C0: 20040084
	v_mul_lo_u32 v2, 16, v2                                    // 0000000032C4: D2850002 00020490
	v_add_u32_e32 v6, v2, v6                                   // 0000000032CC: 680C0D02
	s_mul_i32 s60, s2, 0x100                                   // 0000000032D0: 923CFF02 00000100
	s_mul_i32 s60, s60, s69                                    // 0000000032D8: 923C453C
	s_mul_i32 s61, s5, s72                                     // 0000000032DC: 923D4805
	s_add_u32 s60, s61, s60                                    // 0000000032E0: 803C3C3D
	s_add_u32 s24, s60, s24                                    // 0000000032E4: 8018183C
	s_addc_u32 s25, 0, s25                                     // 0000000032E8: 82191980
	s_mul_i32 s60, s7, 32                                      // 0000000032EC: 923CA007
	s_mul_i32 s60, s60, s69                                    // 0000000032F0: 923C453C
	v_lshlrev_b32_e32 v36, 4, v0                               // 0000000032F4: 24480084
	v_add_u32_e32 v36, s60, v36                                // 0000000032F8: 6848483C
	s_mul_i32 s60, 16, s69                                     // 0000000032FC: 923C4590
	v_add_u32_e32 v37, s60, v36                                // 000000003300: 684A483C
	s_mul_i32 s60, 0x80, s69                                   // 000000003304: 923C45FF 00000080
	v_add_u32_e32 v38, s60, v36                                // 00000000330C: 684C483C
	v_add_u32_e32 v39, s60, v37                                // 000000003310: 684E4A3C
	s_mov_b32 s92, s24                                         // 000000003314: BEDC0018
	s_mov_b32 s93, s25                                         // 000000003318: BEDD0019
	s_mov_b32 s94, s26                                         // 00000000331C: BEDE001A
	s_mov_b32 s95, s27                                         // 000000003320: BEDF001B
	s_mul_i32 s60, s69, s65                                    // 000000003324: 923C4145
	s_add_u32 s92, s60, s92                                    // 000000003328: 805C5C3C
	s_addc_u32 s93, 0, s93                                     // 00000000332C: 825D5D80
	s_mul_i32 s60, s2, 0x800                                   // 000000003330: 923CFF02 00000800
	s_mul_i32 s61, s5, s73                                     // 000000003338: 923D4905
	s_add_u32 s60, s61, s60                                    // 00000000333C: 803C3C3D
	s_add_u32 s12, s60, s12                                    // 000000003340: 800C0C3C
	s_addc_u32 s13, 0, s13                                     // 000000003344: 820D0D80
	s_mul_i32 s60, s7, 32                                      // 000000003348: 923CA007
	s_mul_i32 s60, s60, s70                                    // 00000000334C: 923C463C
	v_lshlrev_b32_e32 v40, 4, v0                               // 000000003350: 24500084
	v_add_u32_e32 v40, s60, v40                                // 000000003354: 6850503C
	s_mul_i32 s60, 16, s70                                     // 000000003358: 923C4690
	v_add_u32_e32 v41, s60, v40                                // 00000000335C: 6852503C
	s_mul_i32 s60, 0x80, s70                                   // 000000003360: 923C46FF 00000080
	v_add_u32_e32 v42, s60, v40                                // 000000003368: 6854503C
	v_add_u32_e32 v43, s60, v41                                // 00000000336C: 6856523C
	s_mul_i32 s56, s70, 0x100                                  // 000000003370: 9238FF46 00000100
	s_mul_i32 s60, s3, 32                                      // 000000003378: 923CA003
	s_mul_i32 s60, 4, s60                                      // 00000000337C: 923C3C84
	s_add_u32 s40, s60, s40                                    // 000000003380: 8028283C
	s_addc_u32 s41, 0, s41                                     // 000000003384: 82292980
	v_and_b32_e32 v2, 15, v0                                   // 000000003388: 2604008F
	v_lshlrev_b32_e32 v13, 2, v2                               // 00000000338C: 241A0482
	v_add_u32_e32 v14, 64, v13                                 // 000000003390: 681C1AC0
	s_mov_b32 s4, 0x100                                        // 000000003394: BE8400FF 00000100
	v_lshlrev_b32_e32 v15, 2, v0                               // 00000000339C: 241E0082
	s_lshr_b32 s61, s64, 5                                     // 0000000033A0: 8F3D8540
	s_mul_i32 s60, s7, 32                                      // 0000000033A4: 923CA007
	s_mul_i32 s60, s61, s60                                    // 0000000033A8: 923C3C3D
	v_add_u32_e64 v15, v15, s60                                // 0000000033AC: D134000F 0000790F
	s_mul_i32 s60, s65, s61                                    // 0000000033B4: 923C3D41
	v_add_u32_e64 v17, v15, s60                                // 0000000033B8: D1340011 0000790F
	s_mul_i32 s60, s61, 0x80                                   // 0000000033C0: 923CFF3D 00000080
	v_add_u32_e64 v16, v15, s60                                // 0000000033C8: D1340010 0000790F
	v_add_u32_e64 v18, v17, s60                                // 0000000033D0: D1340012 00007911
	s_mul_i32 s60, s2, 0x100                                   // 0000000033D8: 923CFF02 00000100
	s_mul_i32 s60, s60, s61                                    // 0000000033E0: 923C3D3C
	s_mul_i32 s61, s5, s74                                     // 0000000033E4: 923D4A05
	s_add_u32 s61, s61, s60                                    // 0000000033E8: 803D3C3D
	s_add_u32 s32, s61, s32                                    // 0000000033EC: 8020203D
	s_addc_u32 s33, 0, s33                                     // 0000000033F0: 82212180
	v_lshlrev_b32_e32 v10, 2, v0                               // 0000000033F4: 24140082
	s_lshr_b32 s60, s65, 5                                     // 0000000033F8: 8F3C8541
	s_mul_i32 s61, s7, 32                                      // 0000000033FC: 923DA007
	s_mul_i32 s61, s61, s60                                    // 000000003400: 923D3C3D
	v_add_u32_e32 v10, s61, v10                                // 000000003404: 6814143D
	s_mul_i32 s60, s60, 0x80                                   // 000000003408: 923CFF3C 00000080
	v_add_u32_e64 v11, v10, s60                                // 000000003410: D134000B 0000790A
	s_mul_i32 s60, s2, 0x100                                   // 000000003418: 923CFF02 00000100
	s_mul_i32 s61, s5, s75                                     // 000000003420: 923D4B05
	s_add_u32 s60, s60, s61                                    // 000000003424: 803C3D3C
	s_add_u32 s16, s60, s16                                    // 000000003428: 8010103C
	s_addc_u32 s17, 0, s17                                     // 00000000342C: 82111180
	s_mov_b32 s57, 0x80                                        // 000000003430: BEB900FF 00000080
	s_mov_b32 s58, 0x800                                       // 000000003438: BEBA00FF 00000800
	s_lshr_b32 s60, s65, 5                                     // 000000003440: 8F3C8541
	s_mul_i32 s79, s60, 0x100                                  // 000000003444: 924FFF3C 00000100
	s_mov_b32 s59, 0                                           // 00000000344C: BEBB0080
	s_mov_b32 s90, s58                                         // 000000003450: BEDA003A
	s_mov_b32 s52, 0x7060302                                   // 000000003454: BEB400FF 07060302
	s_mov_b32 s53, 0x400                                       // 00000000345C: BEB500FF 00000400
	s_mov_b32 s54, 0x40100                                     // 000000003464: BEB600FF 00040100
	s_mov_b32 s55, 0x4020100                                   // 00000000346C: BEB700FF 04020100
	s_mov_b32 s6, 0x3fb8aa3b                                   // 000000003474: BE8600FF 3FB8AA3B
	s_mov_b32 s77, 0xbd92220c                                  // 00000000347C: BECD00FF BD92220C
	s_mov_b32 m0, s50                                          // 000000003484: BEFC0032
	s_mul_i32 s60, s3, 32                                      // 000000003488: 923CA003
	s_mul_i32 s60, s64, s60                                    // 00000000348C: 923C3C40
	s_lshr_b32 s60, s60, 5                                     // 000000003490: 8F3C853C
	s_add_u32 s28, s60, s28                                    // 000000003494: 801C1C3C
	s_addc_u32 s29, 0, s29                                     // 000000003498: 821D1D80
	v_lshlrev_b32_e32 v12, 2, v0                               // 00000000349C: 24180082
	s_mov_b32 s3, 0x100                                        // 0000000034A0: BE8300FF 00000100
	buffer_load_dword v21, v15, s[32:35], 0 offen              // 0000000034A8: E0501000 8008150F
	buffer_load_dword v22, v16, s[32:35], 0 offen              // 0000000034B0: E0501000 80081610
	buffer_load_dword v29, v13, s[40:43], 0 offen              // 0000000034B8: E0501000 800A1D0D
	buffer_load_dword v30, v14, s[40:43], 0 offen              // 0000000034C0: E0501000 800A1E0E
	buffer_load_dwordx4 v35, s[20:23], 0 offen lds             // 0000000034C8: E05D1000 80050023
	s_add_u32 m0, 0, s51                                       // 0000000034D0: 807C3380
	buffer_load_dword v19, v12, s[28:31], 0 offen              // 0000000034D4: E0501000 8007130C
	s_add_u32 s20, s57, s20                                    // 0000000034DC: 80141439
	s_addc_u32 s21, 0, s21                                     // 0000000034E0: 82151580
	s_add_u32 s28, s3, s28                                     // 0000000034E4: 801C1C03
	s_addc_u32 s29, 0, s29                                     // 0000000034E8: 821D1D80
	buffer_load_dwordx4 a[0:3], v36, s[24:27], 0 offen         // 0000000034EC: E05C1000 80860024
	buffer_load_dwordx4 a[4:7], v37, s[24:27], 0 offen         // 0000000034F4: E05C1000 80860425
	buffer_load_dwordx4 a[8:11], v38, s[24:27], 0 offen        // 0000000034FC: E05C1000 80860826
	buffer_load_dwordx4 a[12:15], v39, s[24:27], 0 offen       // 000000003504: E05C1000 80860C27
	buffer_load_dwordx4 a[16:19], v36, s[24:27], 0 offen offset:1024// 00000000350C: E05C1400 80861024
	buffer_load_dwordx4 a[20:23], v37, s[24:27], 0 offen offset:1024// 000000003514: E05C1400 80861425
	buffer_load_dwordx4 a[24:27], v38, s[24:27], 0 offen offset:1024// 00000000351C: E05C1400 80861826
	buffer_load_dwordx4 a[28:31], v39, s[24:27], 0 offen offset:1024// 000000003524: E05C1400 80861C27
	s_add_u32 s24, s58, s24                                    // 00000000352C: 8018183A
	s_addc_u32 s25, 0, s25                                     // 000000003530: 82191980
	v_mov_b32_e32 v44, 0                                       // 000000003534: 7E580280
	v_mov_b32_e32 v76, 0                                       // 000000003538: 7E980280
	v_mov_b32_e32 v45, 0                                       // 00000000353C: 7E5A0280
	v_mov_b32_e32 v77, 0                                       // 000000003540: 7E9A0280
	v_mov_b32_e32 v46, 0                                       // 000000003544: 7E5C0280
	v_mov_b32_e32 v78, 0                                       // 000000003548: 7E9C0280
	v_mov_b32_e32 v47, 0                                       // 00000000354C: 7E5E0280
	v_mov_b32_e32 v79, 0                                       // 000000003550: 7E9E0280
	v_mov_b32_e32 v48, 0                                       // 000000003554: 7E600280
	v_mov_b32_e32 v80, 0                                       // 000000003558: 7EA00280
	v_mov_b32_e32 v49, 0                                       // 00000000355C: 7E620280
	v_mov_b32_e32 v81, 0                                       // 000000003560: 7EA20280
	v_mov_b32_e32 v50, 0                                       // 000000003564: 7E640280
	v_mov_b32_e32 v82, 0                                       // 000000003568: 7EA40280
	v_mov_b32_e32 v51, 0                                       // 00000000356C: 7E660280
	v_mov_b32_e32 v83, 0                                       // 000000003570: 7EA60280
	v_mov_b32_e32 v52, 0                                       // 000000003574: 7E680280
	v_mov_b32_e32 v84, 0                                       // 000000003578: 7EA80280
	v_mov_b32_e32 v53, 0                                       // 00000000357C: 7E6A0280
	v_mov_b32_e32 v85, 0                                       // 000000003580: 7EAA0280
	v_mov_b32_e32 v54, 0                                       // 000000003584: 7E6C0280
	v_mov_b32_e32 v86, 0                                       // 000000003588: 7EAC0280
	v_mov_b32_e32 v55, 0                                       // 00000000358C: 7E6E0280
	v_mov_b32_e32 v87, 0                                       // 000000003590: 7EAE0280
	v_mov_b32_e32 v56, 0                                       // 000000003594: 7E700280
	v_mov_b32_e32 v88, 0                                       // 000000003598: 7EB00280
	v_mov_b32_e32 v57, 0                                       // 00000000359C: 7E720280
	v_mov_b32_e32 v89, 0                                       // 0000000035A0: 7EB20280
	v_mov_b32_e32 v58, 0                                       // 0000000035A4: 7E740280
	v_mov_b32_e32 v90, 0                                       // 0000000035A8: 7EB40280
	v_mov_b32_e32 v59, 0                                       // 0000000035AC: 7E760280
	v_mov_b32_e32 v91, 0                                       // 0000000035B0: 7EB60280
	v_mov_b32_e32 v60, 0                                       // 0000000035B4: 7E780280
	v_mov_b32_e32 v92, 0                                       // 0000000035B8: 7EB80280
	v_mov_b32_e32 v61, 0                                       // 0000000035BC: 7E7A0280
	v_mov_b32_e32 v93, 0                                       // 0000000035C0: 7EBA0280
	v_mov_b32_e32 v62, 0                                       // 0000000035C4: 7E7C0280
	v_mov_b32_e32 v94, 0                                       // 0000000035C8: 7EBC0280
	v_mov_b32_e32 v63, 0                                       // 0000000035CC: 7E7E0280
	v_mov_b32_e32 v95, 0                                       // 0000000035D0: 7EBE0280
	v_mov_b32_e32 v64, 0                                       // 0000000035D4: 7E800280
	v_mov_b32_e32 v96, 0                                       // 0000000035D8: 7EC00280
	v_mov_b32_e32 v65, 0                                       // 0000000035DC: 7E820280
	v_mov_b32_e32 v97, 0                                       // 0000000035E0: 7EC20280
	v_mov_b32_e32 v66, 0                                       // 0000000035E4: 7E840280
	v_mov_b32_e32 v98, 0                                       // 0000000035E8: 7EC40280
	v_mov_b32_e32 v67, 0                                       // 0000000035EC: 7E860280
	v_mov_b32_e32 v99, 0                                       // 0000000035F0: 7EC60280
	v_mov_b32_e32 v68, 0                                       // 0000000035F4: 7E880280
	v_mov_b32_e32 v100, 0                                      // 0000000035F8: 7EC80280
	v_mov_b32_e32 v69, 0                                       // 0000000035FC: 7E8A0280
	v_mov_b32_e32 v101, 0                                      // 000000003600: 7ECA0280
	v_mov_b32_e32 v70, 0                                       // 000000003604: 7E8C0280
	v_mov_b32_e32 v102, 0                                      // 000000003608: 7ECC0280
	v_mov_b32_e32 v71, 0                                       // 00000000360C: 7E8E0280
	v_mov_b32_e32 v103, 0                                      // 000000003610: 7ECE0280
	v_mov_b32_e32 v72, 0                                       // 000000003614: 7E900280
	v_mov_b32_e32 v104, 0                                      // 000000003618: 7ED00280
	v_mov_b32_e32 v73, 0                                       // 00000000361C: 7E920280
	v_mov_b32_e32 v105, 0                                      // 000000003620: 7ED20280
	v_mov_b32_e32 v74, 0                                       // 000000003624: 7E940280
	v_mov_b32_e32 v106, 0                                      // 000000003628: 7ED40280
	v_mov_b32_e32 v75, 0                                       // 00000000362C: 7E960280
	v_mov_b32_e32 v107, 0                                      // 000000003630: 7ED60280
	v_lshrrev_b32_e32 v2, 4, v0                                // 000000003634: 20040084
	v_mul_lo_u32 v8, 34, v2                                    // 000000003638: D2850008 000204A2
	v_and_b32_e32 v2, 15, v0                                   // 000000003640: 2604008F
	v_mul_lo_u32 v3, 2, v2                                     // 000000003644: D2850003 00020482
	v_add_u32_e32 v8, v3, v8                                   // 00000000364C: 68101103
	s_mul_i32 s60, s7, 0x110                                   // 000000003650: 923CFF07 00000110
	v_add_u32_e32 v8, s60, v8                                  // 000000003658: 6810103C
	v_lshlrev_b32_e32 v8, 2, v8                                // 00000000365C: 24101082
	v_lshrrev_b32_e32 v2, 1, v0                                // 000000003660: 20040081
	v_mul_lo_u32 v9, 34, v2                                    // 000000003664: D2850009 000204A2
	v_and_b32_e32 v3, 1, v0                                    // 00000000366C: 26060081
	v_add_u32_e32 v9, v3, v9                                   // 000000003670: 68121303
	s_lshr_b32 s60, s7, 1                                      // 000000003674: 8F3C8107
	s_mul_i32 s60, s60, 8                                      // 000000003678: 923C883C
	s_and_b32 s61, s7, 1                                       // 00000000367C: 863D8107
	s_mul_i32 s61, s61, 2                                      // 000000003680: 923D823D
	s_add_u32 s60, s61, s60                                    // 000000003684: 803C3C3D
	s_mul_i32 s60, 2, s60                                      // 000000003688: 923C3C82
	v_add_u32_e32 v9, s60, v9                                  // 00000000368C: 6812123C
	v_lshlrev_b32_e32 v9, 2, v9                                // 000000003690: 24121282
	s_waitcnt vmcnt(8)                                         // 000000003694: BF8C0F78
	s_barrier                                                  // 000000003698: BF8A0000
	ds_read_b128 v[108:111], v6                                // 00000000369C: D9FE0000 6C000006
	ds_read_b128 v[112:115], v6 offset:64                      // 0000000036A4: D9FE0040 70000006
	ds_read_b128 v[116:119], v6 offset:512                     // 0000000036AC: D9FE0200 74000006
	ds_read_b128 v[120:123], v6 offset:576                     // 0000000036B4: D9FE0240 78000006
	s_cmp_lt_i32 s7, 2                                         // 0000000036BC: BF048207
	s_cbranch_scc0 label_092E                                  // 0000000036C0: BF8406FD

00000000000036c4 <label_0231>:
	s_waitcnt vmcnt(6) lgkmcnt(0)                              // 0000000036C4: BF8C0076
	s_barrier                                                  // 0000000036C8: BF8A0000
	v_mfma_scale_f32_16x16x128_f8f6f4 v[44:47], a[0:3], v[108:111], v[44:47], v21, v19 op_sel_hi:[0,0,0] cbsz:4 blgp:4// 0000000036CC: D3AC6000 00022715 D3AD0C2C 8CB2D900
	v_mfma_scale_f32_16x16x128_f8f6f4 v[60:63], a[0:3], v[116:119], v[60:63], v21, v19 op_sel_hi:[0,0,0] cbsz:4 blgp:4// 0000000036DC: D3AC7000 00022715 D3AD0C3C 8CF2E900
	buffer_load_dwordx4 a[32:35], v36, s[92:95], 0 offen       // 0000000036EC: E05C1000 80972024
	buffer_load_dwordx4 v35, s[20:23], 0 offen lds             // 0000000036F4: E05D1000 80050023
	s_add_u32 m0, 0, s50                                       // 0000000036FC: 807C3280
	v_mfma_scale_f32_16x16x128_f8f6f4 v[48:51], a[4:7], v[108:111], v[48:51], v21, v19 op_sel_hi:[0,0,0] cbsz:4 blgp:4// 000000003700: D3AC6800 00022715 D3AD0C30 8CC2D904
	v_mfma_scale_f32_16x16x128_f8f6f4 v[64:67], a[4:7], v[116:119], v[64:67], v21, v19 op_sel_hi:[0,0,0] cbsz:4 blgp:4// 000000003710: D3AC7800 00022715 D3AD0C40 8D02E904
	buffer_load_dwordx4 a[36:39], v37, s[92:95], 0 offen       // 000000003720: E05C1000 80972425
	buffer_load_dword v20, v12, s[28:31], 0 offen              // 000000003728: E0501000 8007140C
	buffer_load_dword v25, v17, s[32:35], 0 offen              // 000000003730: E0501000 80081911
	buffer_load_dword v26, v18, s[32:35], 0 offen              // 000000003738: E0501000 80081A12
	s_waitcnt vmcnt(10)                                        // 000000003740: BF8C0F7A
	v_mfma_scale_f32_16x16x128_f8f6f4 v[52:55], a[8:11], v[108:111], v[52:55], v22, v19 op_sel_hi:[0,0,0] cbsz:4 blgp:4// 000000003744: D3AC6000 00022716 D3AD0C34 8CD2D908
	v_mfma_scale_f32_16x16x128_f8f6f4 v[68:71], a[8:11], v[116:119], v[68:71], v22, v19 op_sel_hi:[0,0,0] cbsz:4 blgp:4// 000000003754: D3AC7000 00022716 D3AD0C44 8D12E908
	buffer_load_dwordx4 a[40:43], v38, s[92:95], 0 offen       // 000000003764: E05C1000 80972826
	v_mfma_scale_f32_16x16x128_f8f6f4 v[56:59], a[12:15], v[108:111], v[56:59], v22, v19 op_sel_hi:[0,0,0] cbsz:4 blgp:4// 00000000376C: D3AC6800 00022716 D3AD0C38 8CE2D90C
	v_mfma_scale_f32_16x16x128_f8f6f4 v[72:75], a[12:15], v[116:119], v[72:75], v22, v19 op_sel_hi:[0,0,0] cbsz:4 blgp:4// 00000000377C: D3AC7800 00022716 D3AD0C48 8D22E90C
	buffer_load_dwordx4 a[44:47], v39, s[92:95], 0 offen       // 00000000378C: E05C1000 80972C27
	s_nop 0                                                    // 000000003794: BF800000
	s_waitcnt vmcnt(10)                                        // 000000003798: BF8C0F7A
	v_mfma_scale_f32_16x16x128_f8f6f4 v[44:47], a[16:19], v[112:115], v[44:47], v21, v19 op_sel_hi:[0,0,0] cbsz:4 blgp:4// 00000000379C: D3AC6000 18022715 D3AD0C2C 8CB2E110
	v_mfma_scale_f32_16x16x128_f8f6f4 v[60:63], a[16:19], v[120:123], v[60:63], v21, v19 op_sel_hi:[0,0,0] cbsz:4 blgp:4// 0000000037AC: D3AC7000 18022715 D3AD0C3C 8CF2F110
	buffer_load_dwordx4 a[48:51], v36, s[92:95], 0 offen offset:1024// 0000000037BC: E05C1400 80973024
	v_mfma_scale_f32_16x16x128_f8f6f4 v[48:51], a[20:23], v[112:115], v[48:51], v21, v19 op_sel_hi:[0,0,0] cbsz:4 blgp:4// 0000000037C4: D3AC6800 18022715 D3AD0C30 8CC2E114
	v_mfma_scale_f32_16x16x128_f8f6f4 v[64:67], a[20:23], v[120:123], v[64:67], v21, v19 op_sel_hi:[0,0,0] cbsz:4 blgp:4// 0000000037D4: D3AC7800 18022715 D3AD0C40 8D02F114
	buffer_load_dwordx4 a[52:55], v37, s[92:95], 0 offen offset:1024// 0000000037E4: E05C1400 80973425
	s_waitcnt vmcnt(10)                                        // 0000000037EC: BF8C0F7A
	v_mfma_scale_f32_16x16x128_f8f6f4 v[52:55], a[24:27], v[112:115], v[52:55], v22, v19 op_sel_hi:[0,0,0] cbsz:4 blgp:4// 0000000037F0: D3AC6000 18022716 D3AD0C34 8CD2E118
	v_mfma_scale_f32_16x16x128_f8f6f4 v[68:71], a[24:27], v[120:123], v[68:71], v22, v19 op_sel_hi:[0,0,0] cbsz:4 blgp:4// 000000003800: D3AC7000 18022716 D3AD0C44 8D12F118
	buffer_load_dwordx4 a[56:59], v38, s[92:95], 0 offen offset:1024// 000000003810: E05C1400 80973826
	v_mfma_scale_f32_16x16x128_f8f6f4 v[56:59], a[28:31], v[112:115], v[56:59], v22, v19 op_sel_hi:[0,0,0] cbsz:4 blgp:4// 000000003818: D3AC6800 18022716 D3AD0C38 8CE2E11C
	v_mfma_scale_f32_16x16x128_f8f6f4 v[72:75], a[28:31], v[120:123], v[72:75], v22, v19 op_sel_hi:[0,0,0] cbsz:4 blgp:4// 000000003828: D3AC7800 18022716 D3AD0C48 8D22F11C
	buffer_load_dwordx4 a[60:63], v39, s[92:95], 0 offen offset:1024// 000000003838: E05C1400 80973C27
	s_add_u32 s60, 0x100, s80                                  // 000000003840: 803C50FF 00000100
	s_cmp_lt_u32 s60, s81                                      // 000000003848: BF0A513C
	s_cselect_b32 s4, s4, 0                                    // 00000000384C: 85048004
	s_add_u32 s32, s4, s32                                     // 000000003850: 80202004
	s_addc_u32 s33, 0, s33                                     // 000000003854: 82212180
	s_waitcnt vmcnt(6)                                         // 000000003858: BF8C0F76
	s_barrier                                                  // 00000000385C: BF8A0000
	v_mfma_scale_f32_16x16x128_f8f6f4 v[76:79], a[32:35], v[108:111], v[76:79], v25, v19 op_sel_hi:[0,0,0] cbsz:4 blgp:4// 000000003860: D3AC6000 00022719 D3AD0C4C 8D32D920
	v_mfma_scale_f32_16x16x128_f8f6f4 v[92:95], a[32:35], v[116:119], v[92:95], v25, v19 op_sel_hi:[0,0,0] cbsz:4 blgp:4// 000000003870: D3AC7000 00022719 D3AD0C5C 8D72E920
	buffer_load_dwordx4 a[0:3], v36, s[24:27], 0 offen         // 000000003880: E05C1000 80860024
	buffer_load_dword v23, v15, s[32:35], 0 offen              // 000000003888: E0501000 8008170F
	buffer_load_dword v24, v16, s[32:35], 0 offen              // 000000003890: E0501000 80081810
	v_mfma_scale_f32_16x16x128_f8f6f4 v[80:83], a[36:39], v[108:111], v[80:83], v25, v19 op_sel_hi:[0,0,0] cbsz:4 blgp:4// 000000003898: D3AC6800 00022719 D3AD0C50 8D42D924
	v_mfma_scale_f32_16x16x128_f8f6f4 v[96:99], a[36:39], v[116:119], v[96:99], v25, v19 op_sel_hi:[0,0,0] cbsz:4 blgp:4// 0000000038A8: D3AC7800 00022719 D3AD0C60 8D82E924
	buffer_load_dwordx4 a[4:7], v37, s[24:27], 0 offen         // 0000000038B8: E05C1000 80860425
	s_waitcnt vmcnt(8)                                         // 0000000038C0: BF8C0F78
	v_mfma_scale_f32_16x16x128_f8f6f4 v[84:87], a[40:43], v[108:111], v[84:87], v26, v19 op_sel_hi:[0,0,0] cbsz:4 blgp:4// 0000000038C4: D3AC6000 0002271A D3AD0C54 8D52D928
	v_mfma_scale_f32_16x16x128_f8f6f4 v[100:103], a[40:43], v[116:119], v[100:103], v26, v19 op_sel_hi:[0,0,0] cbsz:4 blgp:4// 0000000038D4: D3AC7000 0002271A D3AD0C64 8D92E928
	buffer_load_dwordx4 a[8:11], v38, s[24:27], 0 offen        // 0000000038E4: E05C1000 80860826
	v_mfma_scale_f32_16x16x128_f8f6f4 v[88:91], a[44:47], v[108:111], v[88:91], v26, v19 op_sel_hi:[0,0,0] cbsz:4 blgp:4// 0000000038EC: D3AC6800 0002271A D3AD0C58 8D62D92C
	v_mfma_scale_f32_16x16x128_f8f6f4 v[104:107], a[44:47], v[116:119], v[104:107], v26, v19 op_sel_hi:[0,0,0] cbsz:4 blgp:4// 0000000038FC: D3AC7800 0002271A D3AD0C68 8DA2E92C
	buffer_load_dwordx4 a[12:15], v39, s[24:27], 0 offen       // 00000000390C: E05C1000 80860C27
	s_waitcnt vmcnt(8)                                         // 000000003914: BF8C0F78
	v_mfma_scale_f32_16x16x128_f8f6f4 v[76:79], a[48:51], v[112:115], v[76:79], v25, v19 op_sel_hi:[0,0,0] cbsz:4 blgp:4// 000000003918: D3AC6000 18022719 D3AD0C4C 8D32E130
	ds_read_b128 v[124:127], v6 offset:4224                    // 000000003928: D9FE1080 7C000006
	ds_read_b128 v[128:131], v6 offset:4288                    // 000000003930: D9FE10C0 80000006
	v_mfma_scale_f32_16x16x128_f8f6f4 v[92:95], a[48:51], v[120:123], v[92:95], v25, v19 op_sel_hi:[0,0,0] cbsz:4 blgp:4// 000000003938: D3AC7000 18022719 D3AD0C5C 8D72F130
	buffer_load_dwordx4 a[16:19], v36, s[24:27], 0 offen offset:1024// 000000003948: E05C1400 80861024
	v_mfma_scale_f32_16x16x128_f8f6f4 v[80:83], a[52:55], v[112:115], v[80:83], v25, v19 op_sel_hi:[0,0,0] cbsz:4 blgp:4// 000000003950: D3AC6800 18022719 D3AD0C50 8D42E134
	ds_read_b128 v[132:135], v6 offset:4736                    // 000000003960: D9FE1280 84000006
	ds_read_b128 v[136:139], v6 offset:4800                    // 000000003968: D9FE12C0 88000006
	v_mfma_scale_f32_16x16x128_f8f6f4 v[96:99], a[52:55], v[120:123], v[96:99], v25, v19 op_sel_hi:[0,0,0] cbsz:4 blgp:4// 000000003970: D3AC7800 18022719 D3AD0C60 8D82F134
	buffer_load_dwordx4 a[20:23], v37, s[24:27], 0 offen offset:1024// 000000003980: E05C1400 80861425
	s_waitcnt vmcnt(8)                                         // 000000003988: BF8C0F78
	v_mfma_scale_f32_16x16x128_f8f6f4 v[84:87], a[56:59], v[112:115], v[84:87], v26, v19 op_sel_hi:[0,0,0] cbsz:4 blgp:4// 00000000398C: D3AC6000 1802271A D3AD0C54 8D52E138
	v_mfma_scale_f32_16x16x128_f8f6f4 v[100:103], a[56:59], v[120:123], v[100:103], v26, v19 op_sel_hi:[0,0,0] cbsz:4 blgp:4// 00000000399C: D3AC7000 1802271A D3AD0C64 8D92F138
	buffer_load_dwordx4 a[24:27], v38, s[24:27], 0 offen offset:1024// 0000000039AC: E05C1400 80861826
	v_mfma_scale_f32_16x16x128_f8f6f4 v[88:91], a[60:63], v[112:115], v[88:91], v26, v19 op_sel_hi:[0,0,0] cbsz:4 blgp:4// 0000000039B4: D3AC6800 1802271A D3AD0C58 8D62E13C
	v_mfma_scale_f32_16x16x128_f8f6f4 v[104:107], a[60:63], v[120:123], v[104:107], v26, v19 op_sel_hi:[0,0,0] cbsz:4 blgp:4// 0000000039C4: D3AC7800 1802271A D3AD0C68 8DA2F13C
	buffer_load_dwordx4 a[28:31], v39, s[24:27], 0 offen offset:1024// 0000000039D4: E05C1400 80861C27
	s_add_u32 s60, 0x200, s80                                  // 0000000039DC: 803C50FF 00000200
	s_cmp_lt_u32 s60, s81                                      // 0000000039E4: BF0A513C
	s_cselect_b32 s57, s57, 0                                  // 0000000039E8: 85398039
	s_cselect_b32 s3, s3, 0                                    // 0000000039EC: 85038003
	s_add_u32 s60, 0x200, s80                                  // 0000000039F0: 803C50FF 00000200
	s_cmp_lt_u32 s60, s81                                      // 0000000039F8: BF0A513C
	s_cselect_b32 s58, s58, 0                                  // 0000000039FC: 853A803A
	s_add_u32 s20, s57, s20                                    // 000000003A00: 80141439
	s_addc_u32 s21, 0, s21                                     // 000000003A04: 82151580
	s_add_u32 s28, s3, s28                                     // 000000003A08: 801C1C03
	s_addc_u32 s29, 0, s29                                     // 000000003A0C: 821D1D80
	s_add_u32 s24, s58, s24                                    // 000000003A10: 8018183A
	s_addc_u32 s25, 0, s25                                     // 000000003A14: 82191980
	s_add_u32 s92, s90, s92                                    // 000000003A18: 805C5C5A
	s_addc_u32 s93, 0, s93                                     // 000000003A1C: 825D5D80
	s_addk_i32 s80, 0x100                                      // 000000003A20: B7500100
	s_cmp_lt_i32 s80, s81                                      // 000000003A24: BF045150
	s_cbranch_scc0 label_03E6                                  // 000000003A28: BF8400DB
	s_waitcnt vmcnt(6) lgkmcnt(0)                              // 000000003A2C: BF8C0076
	s_barrier                                                  // 000000003A30: BF8A0000
	v_mfma_scale_f32_16x16x128_f8f6f4 v[44:47], a[0:3], v[124:127], v[44:47], v23, v20 op_sel_hi:[0,0,0] cbsz:4 blgp:4// 000000003A34: D3AC6000 00022917 D3AD0C2C 8CB2F900
	v_mfma_scale_f32_16x16x128_f8f6f4 v[60:63], a[0:3], v[132:135], v[60:63], v23, v20 op_sel_hi:[0,0,0] cbsz:4 blgp:4// 000000003A44: D3AC7000 00022917 D3AD0C3C 8CF30900
	buffer_load_dwordx4 a[32:35], v36, s[92:95], 0 offen       // 000000003A54: E05C1000 80972024
	buffer_load_dwordx4 v35, s[20:23], 0 offen lds             // 000000003A5C: E05D1000 80050023
	s_add_u32 m0, 0, s51                                       // 000000003A64: 807C3380
	v_mfma_scale_f32_16x16x128_f8f6f4 v[48:51], a[4:7], v[124:127], v[48:51], v23, v20 op_sel_hi:[0,0,0] cbsz:4 blgp:4// 000000003A68: D3AC6800 00022917 D3AD0C30 8CC2F904
	v_mfma_scale_f32_16x16x128_f8f6f4 v[64:67], a[4:7], v[132:135], v[64:67], v23, v20 op_sel_hi:[0,0,0] cbsz:4 blgp:4// 000000003A78: D3AC7800 00022917 D3AD0C40 8D030904
	buffer_load_dwordx4 a[36:39], v37, s[92:95], 0 offen       // 000000003A88: E05C1000 80972425
	buffer_load_dword v19, v12, s[28:31], 0 offen              // 000000003A90: E0501000 8007130C
	buffer_load_dword v27, v17, s[32:35], 0 offen              // 000000003A98: E0501000 80081B11
	buffer_load_dword v28, v18, s[32:35], 0 offen              // 000000003AA0: E0501000 80081C12
	s_waitcnt vmcnt(10)                                        // 000000003AA8: BF8C0F7A
	v_mfma_scale_f32_16x16x128_f8f6f4 v[52:55], a[8:11], v[124:127], v[52:55], v24, v20 op_sel_hi:[0,0,0] cbsz:4 blgp:4// 000000003AAC: D3AC6000 00022918 D3AD0C34 8CD2F908
	v_mfma_scale_f32_16x16x128_f8f6f4 v[68:71], a[8:11], v[132:135], v[68:71], v24, v20 op_sel_hi:[0,0,0] cbsz:4 blgp:4// 000000003ABC: D3AC7000 00022918 D3AD0C44 8D130908
	buffer_load_dwordx4 a[40:43], v38, s[92:95], 0 offen       // 000000003ACC: E05C1000 80972826
	v_mfma_scale_f32_16x16x128_f8f6f4 v[56:59], a[12:15], v[124:127], v[56:59], v24, v20 op_sel_hi:[0,0,0] cbsz:4 blgp:4// 000000003AD4: D3AC6800 00022918 D3AD0C38 8CE2F90C
	v_mfma_scale_f32_16x16x128_f8f6f4 v[72:75], a[12:15], v[132:135], v[72:75], v24, v20 op_sel_hi:[0,0,0] cbsz:4 blgp:4// 000000003AE4: D3AC7800 00022918 D3AD0C48 8D23090C
	buffer_load_dwordx4 a[44:47], v39, s[92:95], 0 offen       // 000000003AF4: E05C1000 80972C27
	s_nop 0                                                    // 000000003AFC: BF800000
	s_waitcnt vmcnt(10)                                        // 000000003B00: BF8C0F7A
	v_mfma_scale_f32_16x16x128_f8f6f4 v[44:47], a[16:19], v[128:131], v[44:47], v23, v20 op_sel_hi:[0,0,0] cbsz:4 blgp:4// 000000003B04: D3AC6000 18022917 D3AD0C2C 8CB30110
	v_mfma_scale_f32_16x16x128_f8f6f4 v[60:63], a[16:19], v[136:139], v[60:63], v23, v20 op_sel_hi:[0,0,0] cbsz:4 blgp:4// 000000003B14: D3AC7000 18022917 D3AD0C3C 8CF31110
	buffer_load_dwordx4 a[48:51], v36, s[92:95], 0 offen offset:1024// 000000003B24: E05C1400 80973024
	v_mfma_scale_f32_16x16x128_f8f6f4 v[48:51], a[20:23], v[128:131], v[48:51], v23, v20 op_sel_hi:[0,0,0] cbsz:4 blgp:4// 000000003B2C: D3AC6800 18022917 D3AD0C30 8CC30114
	v_mfma_scale_f32_16x16x128_f8f6f4 v[64:67], a[20:23], v[136:139], v[64:67], v23, v20 op_sel_hi:[0,0,0] cbsz:4 blgp:4// 000000003B3C: D3AC7800 18022917 D3AD0C40 8D031114
	buffer_load_dwordx4 a[52:55], v37, s[92:95], 0 offen offset:1024// 000000003B4C: E05C1400 80973425
	s_waitcnt vmcnt(10)                                        // 000000003B54: BF8C0F7A
	v_mfma_scale_f32_16x16x128_f8f6f4 v[52:55], a[24:27], v[128:131], v[52:55], v24, v20 op_sel_hi:[0,0,0] cbsz:4 blgp:4// 000000003B58: D3AC6000 18022918 D3AD0C34 8CD30118
	v_mfma_scale_f32_16x16x128_f8f6f4 v[68:71], a[24:27], v[136:139], v[68:71], v24, v20 op_sel_hi:[0,0,0] cbsz:4 blgp:4// 000000003B68: D3AC7000 18022918 D3AD0C44 8D131118
	buffer_load_dwordx4 a[56:59], v38, s[92:95], 0 offen offset:1024// 000000003B78: E05C1400 80973826
	v_mfma_scale_f32_16x16x128_f8f6f4 v[56:59], a[28:31], v[128:131], v[56:59], v24, v20 op_sel_hi:[0,0,0] cbsz:4 blgp:4// 000000003B80: D3AC6800 18022918 D3AD0C38 8CE3011C
	v_mfma_scale_f32_16x16x128_f8f6f4 v[72:75], a[28:31], v[136:139], v[72:75], v24, v20 op_sel_hi:[0,0,0] cbsz:4 blgp:4// 000000003B90: D3AC7800 18022918 D3AD0C48 8D23111C
	buffer_load_dwordx4 a[60:63], v39, s[92:95], 0 offen offset:1024// 000000003BA0: E05C1400 80973C27
	s_add_u32 s60, 0x100, s80                                  // 000000003BA8: 803C50FF 00000100
	s_cmp_lt_u32 s60, s81                                      // 000000003BB0: BF0A513C
	s_cselect_b32 s4, s4, 0                                    // 000000003BB4: 85048004
	s_add_u32 s32, s4, s32                                     // 000000003BB8: 80202004
	s_addc_u32 s33, 0, s33                                     // 000000003BBC: 82212180
	s_waitcnt vmcnt(6)                                         // 000000003BC0: BF8C0F76
	s_barrier                                                  // 000000003BC4: BF8A0000
	v_mfma_scale_f32_16x16x128_f8f6f4 v[76:79], a[32:35], v[124:127], v[76:79], v27, v20 op_sel_hi:[0,0,0] cbsz:4 blgp:4// 000000003BC8: D3AC6000 0002291B D3AD0C4C 8D32F920
	v_mfma_scale_f32_16x16x128_f8f6f4 v[92:95], a[32:35], v[132:135], v[92:95], v27, v20 op_sel_hi:[0,0,0] cbsz:4 blgp:4// 000000003BD8: D3AC7000 0002291B D3AD0C5C 8D730920
	buffer_load_dwordx4 a[0:3], v36, s[24:27], 0 offen         // 000000003BE8: E05C1000 80860024
	buffer_load_dword v21, v15, s[32:35], 0 offen              // 000000003BF0: E0501000 8008150F
	buffer_load_dword v22, v16, s[32:35], 0 offen              // 000000003BF8: E0501000 80081610
	v_mfma_scale_f32_16x16x128_f8f6f4 v[80:83], a[36:39], v[124:127], v[80:83], v27, v20 op_sel_hi:[0,0,0] cbsz:4 blgp:4// 000000003C00: D3AC6800 0002291B D3AD0C50 8D42F924
	v_mfma_scale_f32_16x16x128_f8f6f4 v[96:99], a[36:39], v[132:135], v[96:99], v27, v20 op_sel_hi:[0,0,0] cbsz:4 blgp:4// 000000003C10: D3AC7800 0002291B D3AD0C60 8D830924
	buffer_load_dwordx4 a[4:7], v37, s[24:27], 0 offen         // 000000003C20: E05C1000 80860425
	s_waitcnt vmcnt(8)                                         // 000000003C28: BF8C0F78
	v_mfma_scale_f32_16x16x128_f8f6f4 v[84:87], a[40:43], v[124:127], v[84:87], v28, v20 op_sel_hi:[0,0,0] cbsz:4 blgp:4// 000000003C2C: D3AC6000 0002291C D3AD0C54 8D52F928
	v_mfma_scale_f32_16x16x128_f8f6f4 v[100:103], a[40:43], v[132:135], v[100:103], v28, v20 op_sel_hi:[0,0,0] cbsz:4 blgp:4// 000000003C3C: D3AC7000 0002291C D3AD0C64 8D930928
	buffer_load_dwordx4 a[8:11], v38, s[24:27], 0 offen        // 000000003C4C: E05C1000 80860826
	v_mfma_scale_f32_16x16x128_f8f6f4 v[88:91], a[44:47], v[124:127], v[88:91], v28, v20 op_sel_hi:[0,0,0] cbsz:4 blgp:4// 000000003C54: D3AC6800 0002291C D3AD0C58 8D62F92C
	v_mfma_scale_f32_16x16x128_f8f6f4 v[104:107], a[44:47], v[132:135], v[104:107], v28, v20 op_sel_hi:[0,0,0] cbsz:4 blgp:4// 000000003C64: D3AC7800 0002291C D3AD0C68 8DA3092C
	buffer_load_dwordx4 a[12:15], v39, s[24:27], 0 offen       // 000000003C74: E05C1000 80860C27
	s_waitcnt vmcnt(8)                                         // 000000003C7C: BF8C0F78
	v_mfma_scale_f32_16x16x128_f8f6f4 v[76:79], a[48:51], v[128:131], v[76:79], v27, v20 op_sel_hi:[0,0,0] cbsz:4 blgp:4// 000000003C80: D3AC6000 1802291B D3AD0C4C 8D330130
	ds_read_b128 v[108:111], v6                                // 000000003C90: D9FE0000 6C000006
	ds_read_b128 v[112:115], v6 offset:64                      // 000000003C98: D9FE0040 70000006
	v_mfma_scale_f32_16x16x128_f8f6f4 v[92:95], a[48:51], v[136:139], v[92:95], v27, v20 op_sel_hi:[0,0,0] cbsz:4 blgp:4// 000000003CA0: D3AC7000 1802291B D3AD0C5C 8D731130
	buffer_load_dwordx4 a[16:19], v36, s[24:27], 0 offen offset:1024// 000000003CB0: E05C1400 80861024
	v_mfma_scale_f32_16x16x128_f8f6f4 v[80:83], a[52:55], v[128:131], v[80:83], v27, v20 op_sel_hi:[0,0,0] cbsz:4 blgp:4// 000000003CB8: D3AC6800 1802291B D3AD0C50 8D430134
	ds_read_b128 v[116:119], v6 offset:512                     // 000000003CC8: D9FE0200 74000006
	ds_read_b128 v[120:123], v6 offset:576                     // 000000003CD0: D9FE0240 78000006
	v_mfma_scale_f32_16x16x128_f8f6f4 v[96:99], a[52:55], v[136:139], v[96:99], v27, v20 op_sel_hi:[0,0,0] cbsz:4 blgp:4// 000000003CD8: D3AC7800 1802291B D3AD0C60 8D831134
	buffer_load_dwordx4 a[20:23], v37, s[24:27], 0 offen offset:1024// 000000003CE8: E05C1400 80861425
	s_waitcnt vmcnt(8)                                         // 000000003CF0: BF8C0F78
	v_mfma_scale_f32_16x16x128_f8f6f4 v[84:87], a[56:59], v[128:131], v[84:87], v28, v20 op_sel_hi:[0,0,0] cbsz:4 blgp:4// 000000003CF4: D3AC6000 1802291C D3AD0C54 8D530138
	v_mfma_scale_f32_16x16x128_f8f6f4 v[100:103], a[56:59], v[136:139], v[100:103], v28, v20 op_sel_hi:[0,0,0] cbsz:4 blgp:4// 000000003D04: D3AC7000 1802291C D3AD0C64 8D931138
	buffer_load_dwordx4 a[24:27], v38, s[24:27], 0 offen offset:1024// 000000003D14: E05C1400 80861826
	v_mfma_scale_f32_16x16x128_f8f6f4 v[88:91], a[60:63], v[128:131], v[88:91], v28, v20 op_sel_hi:[0,0,0] cbsz:4 blgp:4// 000000003D1C: D3AC6800 1802291C D3AD0C58 8D63013C
	v_mfma_scale_f32_16x16x128_f8f6f4 v[104:107], a[60:63], v[136:139], v[104:107], v28, v20 op_sel_hi:[0,0,0] cbsz:4 blgp:4// 000000003D2C: D3AC7800 1802291C D3AD0C68 8DA3113C
	buffer_load_dwordx4 a[28:31], v39, s[24:27], 0 offen offset:1024// 000000003D3C: E05C1400 80861C27
	s_add_u32 s60, 0x200, s80                                  // 000000003D44: 803C50FF 00000200
	s_cmp_lt_u32 s60, s81                                      // 000000003D4C: BF0A513C
	s_cselect_b32 s57, s57, 0                                  // 000000003D50: 85398039
	s_cselect_b32 s3, s3, 0                                    // 000000003D54: 85038003
	s_add_u32 s60, 0x200, s80                                  // 000000003D58: 803C50FF 00000200
	s_cmp_lt_u32 s60, s81                                      // 000000003D60: BF0A513C
	s_cselect_b32 s58, s58, 0                                  // 000000003D64: 853A803A
	s_add_u32 s20, s57, s20                                    // 000000003D68: 80141439
	s_addc_u32 s21, 0, s21                                     // 000000003D6C: 82151580
	s_add_u32 s28, s3, s28                                     // 000000003D70: 801C1C03
	s_addc_u32 s29, 0, s29                                     // 000000003D74: 821D1D80
	s_add_u32 s24, s58, s24                                    // 000000003D78: 8018183A
	s_addc_u32 s25, 0, s25                                     // 000000003D7C: 82191980
	s_add_u32 s92, s90, s92                                    // 000000003D80: 805C5C5A
	s_addc_u32 s93, 0, s93                                     // 000000003D84: 825D5D80
	s_addk_i32 s80, 0x100                                      // 000000003D88: B7500100
	s_cmp_lt_i32 s80, s81                                      // 000000003D8C: BF045150
	s_cbranch_scc0 label_03E6                                  // 000000003D90: BF840001
	s_branch label_0231                                        // 000000003D94: BF82FE4B

0000000000003d98 <label_03E6>:
	s_mov_b32 s36, -1                                          // 000000003D98: BEA400C1
	s_mov_b32 s37, -1                                          // 000000003D9C: BEA500C1
	s_mov_b64 s[60:61], 0                                      // 000000003DA0: BEBC0180
	s_cmp_lt_u32 s82, s66                                      // 000000003DA4: BF0A4252
	s_cselect_b64 s[20:21], s[36:37], s[60:61]                 // 000000003DA8: 85943C24
	s_cmp_lt_u32 s83, s66                                      // 000000003DAC: BF0A4253
	s_cselect_b64 s[22:23], s[36:37], s[60:61]                 // 000000003DB0: 85963C24
	s_cmp_lt_u32 s84, s66                                      // 000000003DB4: BF0A4254
	s_cselect_b64 s[24:25], s[36:37], s[60:61]                 // 000000003DB8: 85983C24
	s_cmp_lt_u32 s85, s66                                      // 000000003DBC: BF0A4255
	s_cselect_b64 s[26:27], s[36:37], s[60:61]                 // 000000003DC0: 859A3C24
	s_cmp_lt_u32 s86, s66                                      // 000000003DC4: BF0A4256
	s_cselect_b64 s[28:29], s[36:37], s[60:61]                 // 000000003DC8: 859C3C24
	s_cmp_lt_u32 s87, s66                                      // 000000003DCC: BF0A4257
	s_cselect_b64 s[30:31], s[36:37], s[60:61]                 // 000000003DD0: 859E3C24
	s_cmp_lt_u32 s88, s66                                      // 000000003DD4: BF0A4258
	s_cselect_b64 s[32:33], s[36:37], s[60:61]                 // 000000003DD8: 85A03C24
	s_cmp_lt_u32 s89, s66                                      // 000000003DDC: BF0A4259
	s_cselect_b64 s[34:35], s[36:37], s[60:61]                 // 000000003DE0: 85A23C24
	v_mov_b32_e32 v1, 0xbfcc4231                               // 000000003DE4: 7E0202FF BFCC4231
	s_waitcnt vmcnt(6)                                         // 000000003DEC: BF8C0F76
	buffer_load_dwordx4 a[0:3], v40, s[12:15], 0 offen         // 000000003DF0: E05C1000 80830028
	v_mul_f32_e64 v2, -v44, s6                                 // 000000003DF8: D1050002 20000D2C
	v_mul_f32_e64 v3, -v45, s6                                 // 000000003E00: D1050003 20000D2D
	v_mul_f32_e64 v4, -v46, s6                                 // 000000003E08: D1050004 20000D2E
	v_mul_f32_e64 v5, -v47, s6                                 // 000000003E10: D1050005 20000D2F
	v_exp_f32_e32 v2, v2                                       // 000000003E18: 7E044102
	v_exp_f32_e32 v3, v3                                       // 000000003E1C: 7E064103
	v_exp_f32_e32 v4, v4                                       // 000000003E20: 7E084104
	v_exp_f32_e32 v5, v5                                       // 000000003E24: 7E0A4105
	buffer_load_dwordx4 a[4:7], v41, s[12:15], 0 offen         // 000000003E28: E05C1000 80830429
	v_add_f32_e64 v2, v2, 1.0                                  // 000000003E30: D1010002 0001E502
	v_add_f32_e64 v3, v3, 1.0                                  // 000000003E38: D1010003 0001E503
	v_add_f32_e64 v4, v4, 1.0                                  // 000000003E40: D1010004 0001E504
	v_add_f32_e64 v5, v5, 1.0                                  // 000000003E48: D1010005 0001E505
	v_rcp_f32_e32 v2, v2                                       // 000000003E50: 7E044502
	v_rcp_f32_e32 v3, v3                                       // 000000003E54: 7E064503
	v_rcp_f32_e32 v4, v4                                       // 000000003E58: 7E084504
	v_rcp_f32_e32 v5, v5                                       // 000000003E5C: 7E0A4505
	v_mul_f32_e32 v44, v44, v2                                 // 000000003E60: 0A58052C
	v_mul_f32_e32 v45, v45, v3                                 // 000000003E64: 0A5A072D
	v_mul_f32_e32 v46, v46, v4                                 // 000000003E68: 0A5C092E
	v_mul_f32_e32 v47, v47, v5                                 // 000000003E6C: 0A5E0B2F
	v_mul_f32_e32 v44, v44, v76                                // 000000003E70: 0A58992C
	v_mul_f32_e32 v45, v45, v77                                // 000000003E74: 0A5A9B2D
	v_mul_f32_e32 v46, v46, v78                                // 000000003E78: 0A5C9D2E
	v_mul_f32_e32 v47, v47, v79                                // 000000003E7C: 0A5E9F2F
	s_waitcnt vmcnt(6)                                         // 000000003E80: BF8C0F76
	buffer_load_dwordx4 a[8:11], v42, s[12:15], 0 offen        // 000000003E84: E05C1000 8083082A
	v_mul_f32_e64 v2, -v48, s6                                 // 000000003E8C: D1050002 20000D30
	v_mul_f32_e64 v3, -v49, s6                                 // 000000003E94: D1050003 20000D31
	v_mul_f32_e64 v4, -v50, s6                                 // 000000003E9C: D1050004 20000D32
	v_mul_f32_e64 v5, -v51, s6                                 // 000000003EA4: D1050005 20000D33
	v_exp_f32_e32 v2, v2                                       // 000000003EAC: 7E044102
	v_exp_f32_e32 v3, v3                                       // 000000003EB0: 7E064103
	v_exp_f32_e32 v4, v4                                       // 000000003EB4: 7E084104
	v_exp_f32_e32 v5, v5                                       // 000000003EB8: 7E0A4105
	buffer_load_dwordx4 a[12:15], v43, s[12:15], 0 offen       // 000000003EBC: E05C1000 80830C2B
	v_add_f32_e64 v2, v2, 1.0                                  // 000000003EC4: D1010002 0001E502
	v_add_f32_e64 v3, v3, 1.0                                  // 000000003ECC: D1010003 0001E503
	v_add_f32_e64 v4, v4, 1.0                                  // 000000003ED4: D1010004 0001E504
	v_add_f32_e64 v5, v5, 1.0                                  // 000000003EDC: D1010005 0001E505
	v_rcp_f32_e32 v2, v2                                       // 000000003EE4: 7E044502
	v_rcp_f32_e32 v3, v3                                       // 000000003EE8: 7E064503
	v_rcp_f32_e32 v4, v4                                       // 000000003EEC: 7E084504
	v_rcp_f32_e32 v5, v5                                       // 000000003EF0: 7E0A4505
	v_mul_f32_e32 v48, v48, v2                                 // 000000003EF4: 0A600530
	v_mul_f32_e32 v49, v49, v3                                 // 000000003EF8: 0A620731
	v_mul_f32_e32 v50, v50, v4                                 // 000000003EFC: 0A640932
	v_mul_f32_e32 v51, v51, v5                                 // 000000003F00: 0A660B33
	v_mul_f32_e32 v48, v48, v80                                // 000000003F04: 0A60A130
	v_mul_f32_e32 v49, v49, v81                                // 000000003F08: 0A62A331
	v_mul_f32_e32 v50, v50, v82                                // 000000003F0C: 0A64A532
	v_mul_f32_e32 v51, v51, v83                                // 000000003F10: 0A66A733
	s_waitcnt vmcnt(6)                                         // 000000003F14: BF8C0F76
	buffer_load_dwordx4 a[16:19], v40, s[12:15], 0 offen offset:1024// 000000003F18: E05C1400 80831028
	v_mul_f32_e64 v2, -v52, s6                                 // 000000003F20: D1050002 20000D34
	v_mul_f32_e64 v3, -v53, s6                                 // 000000003F28: D1050003 20000D35
	v_mul_f32_e64 v4, -v54, s6                                 // 000000003F30: D1050004 20000D36
	v_mul_f32_e64 v5, -v55, s6                                 // 000000003F38: D1050005 20000D37
	v_exp_f32_e32 v2, v2                                       // 000000003F40: 7E044102
	v_exp_f32_e32 v3, v3                                       // 000000003F44: 7E064103
	v_exp_f32_e32 v4, v4                                       // 000000003F48: 7E084104
	v_exp_f32_e32 v5, v5                                       // 000000003F4C: 7E0A4105
	buffer_load_dwordx4 a[20:23], v41, s[12:15], 0 offen offset:1024// 000000003F50: E05C1400 80831429
	v_add_f32_e64 v2, v2, 1.0                                  // 000000003F58: D1010002 0001E502
	v_add_f32_e64 v3, v3, 1.0                                  // 000000003F60: D1010003 0001E503
	v_add_f32_e64 v4, v4, 1.0                                  // 000000003F68: D1010004 0001E504
	v_add_f32_e64 v5, v5, 1.0                                  // 000000003F70: D1010005 0001E505
	v_rcp_f32_e32 v2, v2                                       // 000000003F78: 7E044502
	v_rcp_f32_e32 v3, v3                                       // 000000003F7C: 7E064503
	v_rcp_f32_e32 v4, v4                                       // 000000003F80: 7E084504
	v_rcp_f32_e32 v5, v5                                       // 000000003F84: 7E0A4505
	v_mul_f32_e32 v52, v52, v2                                 // 000000003F88: 0A680534
	v_mul_f32_e32 v53, v53, v3                                 // 000000003F8C: 0A6A0735
	v_mul_f32_e32 v54, v54, v4                                 // 000000003F90: 0A6C0936
	v_mul_f32_e32 v55, v55, v5                                 // 000000003F94: 0A6E0B37
	v_mul_f32_e32 v52, v52, v84                                // 000000003F98: 0A68A934
	v_mul_f32_e32 v53, v53, v85                                // 000000003F9C: 0A6AAB35
	v_mul_f32_e32 v54, v54, v86                                // 000000003FA0: 0A6CAD36
	v_mul_f32_e32 v55, v55, v87                                // 000000003FA4: 0A6EAF37
	s_waitcnt vmcnt(6)                                         // 000000003FA8: BF8C0F76
	buffer_load_dwordx4 a[24:27], v42, s[12:15], 0 offen offset:1024// 000000003FAC: E05C1400 8083182A
	v_mul_f32_e64 v2, -v56, s6                                 // 000000003FB4: D1050002 20000D38
	v_mul_f32_e64 v3, -v57, s6                                 // 000000003FBC: D1050003 20000D39
	v_mul_f32_e64 v4, -v58, s6                                 // 000000003FC4: D1050004 20000D3A
	v_mul_f32_e64 v5, -v59, s6                                 // 000000003FCC: D1050005 20000D3B
	v_exp_f32_e32 v2, v2                                       // 000000003FD4: 7E044102
	v_exp_f32_e32 v3, v3                                       // 000000003FD8: 7E064103
	v_exp_f32_e32 v4, v4                                       // 000000003FDC: 7E084104
	v_exp_f32_e32 v5, v5                                       // 000000003FE0: 7E0A4105
	buffer_load_dwordx4 a[28:31], v43, s[12:15], 0 offen offset:1024// 000000003FE4: E05C1400 80831C2B
	v_add_f32_e64 v2, v2, 1.0                                  // 000000003FEC: D1010002 0001E502
	v_add_f32_e64 v3, v3, 1.0                                  // 000000003FF4: D1010003 0001E503
	v_add_f32_e64 v4, v4, 1.0                                  // 000000003FFC: D1010004 0001E504
	v_add_f32_e64 v5, v5, 1.0                                  // 000000004004: D1010005 0001E505
	v_rcp_f32_e32 v2, v2                                       // 00000000400C: 7E044502
	v_rcp_f32_e32 v3, v3                                       // 000000004010: 7E064503
	v_rcp_f32_e32 v4, v4                                       // 000000004014: 7E084504
	v_rcp_f32_e32 v5, v5                                       // 000000004018: 7E0A4505
	v_mul_f32_e32 v56, v56, v2                                 // 00000000401C: 0A700538
	v_mul_f32_e32 v57, v57, v3                                 // 000000004020: 0A720739
	v_mul_f32_e32 v58, v58, v4                                 // 000000004024: 0A74093A
	v_mul_f32_e32 v59, v59, v5                                 // 000000004028: 0A760B3B
	v_mul_f32_e32 v56, v56, v88                                // 00000000402C: 0A70B138
	v_mul_f32_e32 v57, v57, v89                                // 000000004030: 0A72B339
	v_mul_f32_e32 v58, v58, v90                                // 000000004034: 0A74B53A
	v_mul_f32_e32 v59, v59, v91                                // 000000004038: 0A76B73B
	s_waitcnt vmcnt(6)                                         // 00000000403C: BF8C0F76
	v_mul_f32_e64 v2, -v60, s6                                 // 000000004040: D1050002 20000D3C
	v_mul_f32_e64 v3, -v61, s6                                 // 000000004048: D1050003 20000D3D
	v_mul_f32_e64 v4, -v62, s6                                 // 000000004050: D1050004 20000D3E
	v_mul_f32_e64 v5, -v63, s6                                 // 000000004058: D1050005 20000D3F
	v_exp_f32_e32 v2, v2                                       // 000000004060: 7E044102
	v_exp_f32_e32 v3, v3                                       // 000000004064: 7E064103
	v_exp_f32_e32 v4, v4                                       // 000000004068: 7E084104
	v_exp_f32_e32 v5, v5                                       // 00000000406C: 7E0A4105
	v_add_f32_e64 v2, v2, 1.0                                  // 000000004070: D1010002 0001E502
	v_add_f32_e64 v3, v3, 1.0                                  // 000000004078: D1010003 0001E503
	v_add_f32_e64 v4, v4, 1.0                                  // 000000004080: D1010004 0001E504
	v_add_f32_e64 v5, v5, 1.0                                  // 000000004088: D1010005 0001E505
	v_rcp_f32_e32 v2, v2                                       // 000000004090: 7E044502
	v_rcp_f32_e32 v3, v3                                       // 000000004094: 7E064503
	v_rcp_f32_e32 v4, v4                                       // 000000004098: 7E084504
	v_rcp_f32_e32 v5, v5                                       // 00000000409C: 7E0A4505
	v_mul_f32_e32 v60, v60, v2                                 // 0000000040A0: 0A78053C
	v_mul_f32_e32 v61, v61, v3                                 // 0000000040A4: 0A7A073D
	v_mul_f32_e32 v62, v62, v4                                 // 0000000040A8: 0A7C093E
	v_mul_f32_e32 v63, v63, v5                                 // 0000000040AC: 0A7E0B3F
	v_mul_f32_e32 v60, v60, v92                                // 0000000040B0: 0A78B93C
	v_mul_f32_e32 v61, v61, v93                                // 0000000040B4: 0A7ABB3D
	v_mul_f32_e32 v62, v62, v94                                // 0000000040B8: 0A7CBD3E
	v_mul_f32_e32 v63, v63, v95                                // 0000000040BC: 0A7EBF3F
	s_waitcnt vmcnt(6)                                         // 0000000040C0: BF8C0F76
	v_mul_f32_e64 v2, -v64, s6                                 // 0000000040C4: D1050002 20000D40
	v_mul_f32_e64 v3, -v65, s6                                 // 0000000040CC: D1050003 20000D41
	v_mul_f32_e64 v4, -v66, s6                                 // 0000000040D4: D1050004 20000D42
	v_mul_f32_e64 v5, -v67, s6                                 // 0000000040DC: D1050005 20000D43
	v_exp_f32_e32 v2, v2                                       // 0000000040E4: 7E044102
	v_exp_f32_e32 v3, v3                                       // 0000000040E8: 7E064103
	v_exp_f32_e32 v4, v4                                       // 0000000040EC: 7E084104
	v_exp_f32_e32 v5, v5                                       // 0000000040F0: 7E0A4105
	v_add_f32_e64 v2, v2, 1.0                                  // 0000000040F4: D1010002 0001E502
	v_add_f32_e64 v3, v3, 1.0                                  // 0000000040FC: D1010003 0001E503
	v_add_f32_e64 v4, v4, 1.0                                  // 000000004104: D1010004 0001E504
	v_add_f32_e64 v5, v5, 1.0                                  // 00000000410C: D1010005 0001E505
	v_rcp_f32_e32 v2, v2                                       // 000000004114: 7E044502
	v_rcp_f32_e32 v3, v3                                       // 000000004118: 7E064503
	v_rcp_f32_e32 v4, v4                                       // 00000000411C: 7E084504
	v_rcp_f32_e32 v5, v5                                       // 000000004120: 7E0A4505
	v_mul_f32_e32 v64, v64, v2                                 // 000000004124: 0A800540
	v_mul_f32_e32 v65, v65, v3                                 // 000000004128: 0A820741
	v_mul_f32_e32 v66, v66, v4                                 // 00000000412C: 0A840942
	v_mul_f32_e32 v67, v67, v5                                 // 000000004130: 0A860B43
	v_mul_f32_e32 v64, v64, v96                                // 000000004134: 0A80C140
	v_mul_f32_e32 v65, v65, v97                                // 000000004138: 0A82C341
	v_mul_f32_e32 v66, v66, v98                                // 00000000413C: 0A84C542
	v_mul_f32_e32 v67, v67, v99                                // 000000004140: 0A86C743
	s_waitcnt vmcnt(6)                                         // 000000004144: BF8C0F76
	v_mul_f32_e64 v2, -v68, s6                                 // 000000004148: D1050002 20000D44
	v_mul_f32_e64 v3, -v69, s6                                 // 000000004150: D1050003 20000D45
	v_mul_f32_e64 v4, -v70, s6                                 // 000000004158: D1050004 20000D46
	v_mul_f32_e64 v5, -v71, s6                                 // 000000004160: D1050005 20000D47
	v_exp_f32_e32 v2, v2                                       // 000000004168: 7E044102
	v_exp_f32_e32 v3, v3                                       // 00000000416C: 7E064103
	v_exp_f32_e32 v4, v4                                       // 000000004170: 7E084104
	v_exp_f32_e32 v5, v5                                       // 000000004174: 7E0A4105
	v_add_f32_e64 v2, v2, 1.0                                  // 000000004178: D1010002 0001E502
	v_add_f32_e64 v3, v3, 1.0                                  // 000000004180: D1010003 0001E503
	v_add_f32_e64 v4, v4, 1.0                                  // 000000004188: D1010004 0001E504
	v_add_f32_e64 v5, v5, 1.0                                  // 000000004190: D1010005 0001E505
	v_rcp_f32_e32 v2, v2                                       // 000000004198: 7E044502
	v_rcp_f32_e32 v3, v3                                       // 00000000419C: 7E064503
	v_rcp_f32_e32 v4, v4                                       // 0000000041A0: 7E084504
	v_rcp_f32_e32 v5, v5                                       // 0000000041A4: 7E0A4505
	v_mul_f32_e32 v68, v68, v2                                 // 0000000041A8: 0A880544
	v_mul_f32_e32 v69, v69, v3                                 // 0000000041AC: 0A8A0745
	v_mul_f32_e32 v70, v70, v4                                 // 0000000041B0: 0A8C0946
	v_mul_f32_e32 v71, v71, v5                                 // 0000000041B4: 0A8E0B47
	v_mul_f32_e32 v68, v68, v100                               // 0000000041B8: 0A88C944
	v_mul_f32_e32 v69, v69, v101                               // 0000000041BC: 0A8ACB45
	v_mul_f32_e32 v70, v70, v102                               // 0000000041C0: 0A8CCD46
	v_mul_f32_e32 v71, v71, v103                               // 0000000041C4: 0A8ECF47
	s_waitcnt vmcnt(6)                                         // 0000000041C8: BF8C0F76
	v_mul_f32_e64 v2, -v72, s6                                 // 0000000041CC: D1050002 20000D48
	v_mul_f32_e64 v3, -v73, s6                                 // 0000000041D4: D1050003 20000D49
	v_mul_f32_e64 v4, -v74, s6                                 // 0000000041DC: D1050004 20000D4A
	v_mul_f32_e64 v5, -v75, s6                                 // 0000000041E4: D1050005 20000D4B
	v_exp_f32_e32 v2, v2                                       // 0000000041EC: 7E044102
	v_exp_f32_e32 v3, v3                                       // 0000000041F0: 7E064103
	v_exp_f32_e32 v4, v4                                       // 0000000041F4: 7E084104
	v_exp_f32_e32 v5, v5                                       // 0000000041F8: 7E0A4105
	v_add_f32_e64 v2, v2, 1.0                                  // 0000000041FC: D1010002 0001E502
	v_add_f32_e64 v3, v3, 1.0                                  // 000000004204: D1010003 0001E503
	v_add_f32_e64 v4, v4, 1.0                                  // 00000000420C: D1010004 0001E504
	v_add_f32_e64 v5, v5, 1.0                                  // 000000004214: D1010005 0001E505
	v_rcp_f32_e32 v2, v2                                       // 00000000421C: 7E044502
	v_rcp_f32_e32 v3, v3                                       // 000000004220: 7E064503
	v_rcp_f32_e32 v4, v4                                       // 000000004224: 7E084504
	v_rcp_f32_e32 v5, v5                                       // 000000004228: 7E0A4505
	v_mul_f32_e32 v72, v72, v2                                 // 00000000422C: 0A900548
	v_mul_f32_e32 v73, v73, v3                                 // 000000004230: 0A920749
	v_mul_f32_e32 v74, v74, v4                                 // 000000004234: 0A94094A
	v_mul_f32_e32 v75, v75, v5                                 // 000000004238: 0A960B4B
	v_mul_f32_e32 v72, v72, v104                               // 00000000423C: 0A90D148
	v_mul_f32_e32 v73, v73, v105                               // 000000004240: 0A92D349
	v_mul_f32_e32 v74, v74, v106                               // 000000004244: 0A94D54A
	v_mul_f32_e32 v75, v75, v107                               // 000000004248: 0A96D74B
	v_lshlrev_b32_e32 v2, 2, v0                                // 00000000424C: 24040082
	s_mul_i32 s60, s82, s71                                    // 000000004250: 923C4752
	v_add_u32_e64 v92, v2, s60                                 // 000000004254: D134005C 00007902
	v_mov_b32_e32 v93, 0                                       // 00000000425C: 7EBA0280
	s_mul_i32 s60, s83, s71                                    // 000000004260: 923C4753
	v_add_u32_e64 v94, v2, s60                                 // 000000004264: D134005E 00007902
	v_mov_b32_e32 v95, 0                                       // 00000000426C: 7EBE0280
	s_mul_i32 s60, s84, s71                                    // 000000004270: 923C4754
	v_add_u32_e64 v96, v2, s60                                 // 000000004274: D1340060 00007902
	v_mov_b32_e32 v97, 0                                       // 00000000427C: 7EC20280
	s_mul_i32 s60, s85, s71                                    // 000000004280: 923C4755
	v_add_u32_e64 v98, v2, s60                                 // 000000004284: D1340062 00007902
	v_mov_b32_e32 v99, 0                                       // 00000000428C: 7EC60280
	s_mul_i32 s60, s86, s71                                    // 000000004290: 923C4756
	v_add_u32_e64 v100, v2, s60                                // 000000004294: D1340064 00007902
	v_mov_b32_e32 v101, 0                                      // 00000000429C: 7ECA0280
	s_mul_i32 s60, s87, s71                                    // 0000000042A0: 923C4757
	v_add_u32_e64 v102, v2, s60                                // 0000000042A4: D1340066 00007902
	v_mov_b32_e32 v103, 0                                      // 0000000042AC: 7ECE0280
	s_mul_i32 s60, s88, s71                                    // 0000000042B0: 923C4758
	v_add_u32_e64 v104, v2, s60                                // 0000000042B4: D1340068 00007902
	v_mov_b32_e32 v105, 0                                      // 0000000042BC: 7ED20280
	s_mul_i32 s60, s89, s71                                    // 0000000042C0: 923C4759
	v_add_u32_e64 v106, v2, s60                                // 0000000042C4: D134006A 00007902
	v_mov_b32_e32 v107, 0                                      // 0000000042CC: 7ED60280
	buffer_load_dword v21, v10, s[16:19], 0 offen              // 0000000042D0: E0501000 8004150A
	buffer_load_dword v22, v11, s[16:19], 0 offen              // 0000000042D8: E0501000 8004160B
	v_mov_b32_e32 v31, 0x358637bd                              // 0000000042E0: 7E3E02FF 358637BD
	v_mov_b32_e32 v32, 0x358637bd                              // 0000000042E8: 7E4002FF 358637BD
	v_max3_f32 v31, |v44|, |v45|, v31                          // 0000000042F0: D1D3031F 047E5B2C
	v_max3_f32 v31, |v46|, |v47|, v31                          // 0000000042F8: D1D3031F 047E5F2E
	v_max3_f32 v31, |v48|, |v49|, v31                          // 000000004300: D1D3031F 047E6330
	v_max3_f32 v31, |v50|, |v51|, v31                          // 000000004308: D1D3031F 047E6732
	v_max3_f32 v32, |v60|, |v61|, v32                          // 000000004310: D1D30320 04827B3C
	v_max3_f32 v32, |v62|, |v63|, v32                          // 000000004318: D1D30320 04827F3E
	v_max3_f32 v32, |v64|, |v65|, v32                          // 000000004320: D1D30320 04828340
	v_max3_f32 v32, |v66|, |v67|, v32                          // 000000004328: D1D30320 04828742
	v_mov_b32_e32 v2, v31                                      // 000000004330: 7E04031F
	s_nop 1                                                    // 000000004334: BF800001
	v_permlane32_swap_b32_e32 v2, v31                          // 000000004338: 7E04B51F
	v_max_f32_e32 v31, v2, v31                                 // 00000000433C: 163E3F02
	v_mov_b32_e32 v2, v31                                      // 000000004340: 7E04031F
	s_nop 1                                                    // 000000004344: BF800001
	v_permlane16_swap_b32_e32 v2, v31                          // 000000004348: 7E04B31F
	v_max_f32_e32 v31, v2, v31                                 // 00000000434C: 163E3F02
	v_mov_b32_e32 v2, v32                                      // 000000004350: 7E040320
	s_nop 1                                                    // 000000004354: BF800001
	v_permlane32_swap_b32_e32 v2, v32                          // 000000004358: 7E04B520
	v_max_f32_e32 v32, v2, v32                                 // 00000000435C: 16404102
	v_mov_b32_e32 v2, v32                                      // 000000004360: 7E040320
	s_nop 1                                                    // 000000004364: BF800001
	v_permlane16_swap_b32_e32 v2, v32                          // 000000004368: 7E04B320
	v_max_f32_e32 v32, v2, v32                                 // 00000000436C: 16404102
	v_mov_b32_e32 v2, 0x3e800000                               // 000000004370: 7E0402FF 3E800000
	v_mul_f32_e32 v31, v2, v31                                 // 000000004378: 0A3E3F02
	v_mul_f32_e32 v32, v2, v32                                 // 00000000437C: 0A404102
	v_mov_b32_e32 v1, 0x7fff0000                               // 000000004380: 7E0202FF 7FFF0000
	v_mov_b32_e32 v5, 0x7fbfffff                               // 000000004388: 7E0A02FF 7FBFFFFF
	v_bfe_u32 v2, v31, 22, 1                                   // 000000004390: D1C80002 02052D1F
	v_and_b32_e32 v3, v31, v5                                  // 000000004398: 26060B1F
	v_cmp_eq_u32_e64 s[60:61], v3, 0                           // 00000000439C: D0CA003C 00010103
	v_cndmask_b32_e64 v4, 1, 0, s[60:61]                       // 0000000043A4: D1000004 00F10081
	v_and_b32_e32 v4, v4, v2                                   // 0000000043AC: 26080504
	v_bfe_u32 v5, v31, 23, 8                                   // 0000000043B0: D1C80005 02212F1F
	v_add_u32_e32 v5, v5, v4                                   // 0000000043B8: 680A0905
	v_cmp_u_f32_e64 s[60:61], v31, v31                         // 0000000043BC: D048003C 00023F1F
	v_lshlrev_b32_e32 v31, 23, v5                              // 0000000043C4: 243E0A97
	v_cndmask_b32_e64 v31, v31, v1, s[60:61]                   // 0000000043C8: D100001F 00F2031F
	v_mov_b32_e32 v5, 0x7fbfffff                               // 0000000043D0: 7E0A02FF 7FBFFFFF
	v_bfe_u32 v2, v32, 22, 1                                   // 0000000043D8: D1C80002 02052D20
	v_and_b32_e32 v3, v32, v5                                  // 0000000043E0: 26060B20
	v_cmp_eq_u32_e64 s[60:61], v3, 0                           // 0000000043E4: D0CA003C 00010103
	v_cndmask_b32_e64 v4, 1, 0, s[60:61]                       // 0000000043EC: D1000004 00F10081
	v_and_b32_e32 v4, v4, v2                                   // 0000000043F4: 26080504
	v_bfe_u32 v5, v32, 23, 8                                   // 0000000043F8: D1C80005 02212F20
	v_add_u32_e32 v5, v5, v4                                   // 000000004400: 680A0905
	v_cmp_u_f32_e64 s[60:61], v32, v32                         // 000000004404: D048003C 00024120
	v_lshlrev_b32_e32 v32, 23, v5                              // 00000000440C: 24400A97
	v_cndmask_b32_e64 v32, v32, v1, s[60:61]                   // 000000004410: D1000020 00F20320
	s_mov_b32 s60, 0xffff                                      // 000000004418: BEBC00FF 0000FFFF
	v_cvt_scalef32_pk_fp4_f32 v44, v44, v45, v31               // 000000004420: D23D002C 047E5B2C
	v_cvt_scalef32_pk_fp4_f32 v44, v46, v47, v31 op_sel:[0,0,1,0]// 000000004428: D23D202C 047E5F2E
	v_cvt_scalef32_pk_fp4_f32 v48, v48, v49, v31               // 000000004430: D23D0030 047E6330
	v_cvt_scalef32_pk_fp4_f32 v48, v50, v51, v31 op_sel:[0,0,1,0]// 000000004438: D23D2030 047E6732
	s_nop 1                                                    // 000000004440: BF800001
	v_permlane16_swap_b32_e32 v44, v48                         // 000000004444: 7E58B330
	s_nop 1                                                    // 000000004448: BF800001
	v_and_b32_e64 v44, v44, s60                                // 00000000444C: D113002C 0000792C
	v_lshlrev_b32_e32 v48, 16, v48                             // 000000004454: 24606090
	v_or_b32_e32 v44, v44, v48                                 // 000000004458: 2858612C
	v_mov_b32_e32 v48, v44                                     // 00000000445C: 7E60032C
	s_nop 1                                                    // 000000004460: BF800001
	v_permlane32_swap_b32_e32 v44, v48                         // 000000004464: 7E58B530
	s_nop 1                                                    // 000000004468: BF800001
	v_permlane16_swap_b32_e32 v44, v48                         // 00000000446C: 7E58B330
	s_nop 1                                                    // 000000004470: BF800001
	v_permlane32_swap_b32_e32 v44, v48                         // 000000004474: 7E58B530
	s_nop 1                                                    // 000000004478: BF800001
	v_cvt_scalef32_pk_fp4_f32 v60, v60, v61, v32               // 00000000447C: D23D003C 04827B3C
	v_cvt_scalef32_pk_fp4_f32 v60, v62, v63, v32 op_sel:[0,0,1,0]// 000000004484: D23D203C 04827F3E
	v_cvt_scalef32_pk_fp4_f32 v64, v64, v65, v32               // 00000000448C: D23D0040 04828340
	v_cvt_scalef32_pk_fp4_f32 v64, v66, v67, v32 op_sel:[0,0,1,0]// 000000004494: D23D2040 04828742
	s_nop 1                                                    // 00000000449C: BF800001
	v_permlane16_swap_b32_e32 v60, v64                         // 0000000044A0: 7E78B340
	s_nop 1                                                    // 0000000044A4: BF800001
	v_and_b32_e64 v60, v60, s60                                // 0000000044A8: D113003C 0000793C
	v_lshlrev_b32_e32 v64, 16, v64                             // 0000000044B0: 24808090
	v_or_b32_e32 v60, v60, v64                                 // 0000000044B4: 2878813C
	v_mov_b32_e32 v64, v60                                     // 0000000044B8: 7E80033C
	s_nop 1                                                    // 0000000044BC: BF800001
	v_permlane32_swap_b32_e32 v60, v64                         // 0000000044C0: 7E78B540
	s_nop 1                                                    // 0000000044C4: BF800001
	v_permlane16_swap_b32_e32 v60, v64                         // 0000000044C8: 7E78B340
	s_nop 1                                                    // 0000000044CC: BF800001
	v_permlane32_swap_b32_e32 v60, v64                         // 0000000044D0: 7E78B540
	s_nop 1                                                    // 0000000044D4: BF800001
	v_mov_b32_e32 v33, 0x358637bd                              // 0000000044D8: 7E4202FF 358637BD
	v_mov_b32_e32 v34, 0x358637bd                              // 0000000044E0: 7E4402FF 358637BD
	v_max3_f32 v33, |v52|, |v53|, v33                          // 0000000044E8: D1D30321 04866B34
	v_max3_f32 v33, |v54|, |v55|, v33                          // 0000000044F0: D1D30321 04866F36
	v_max3_f32 v33, |v56|, |v57|, v33                          // 0000000044F8: D1D30321 04867338
	v_max3_f32 v33, |v58|, |v59|, v33                          // 000000004500: D1D30321 0486773A
	v_max3_f32 v34, |v68|, |v69|, v34                          // 000000004508: D1D30322 048A8B44
	v_max3_f32 v34, |v70|, |v71|, v34                          // 000000004510: D1D30322 048A8F46
	v_max3_f32 v34, |v72|, |v73|, v34                          // 000000004518: D1D30322 048A9348
	v_max3_f32 v34, |v74|, |v75|, v34                          // 000000004520: D1D30322 048A974A
	v_mov_b32_e32 v2, v33                                      // 000000004528: 7E040321
	s_nop 1                                                    // 00000000452C: BF800001
	v_permlane32_swap_b32_e32 v2, v33                          // 000000004530: 7E04B521
	v_max_f32_e32 v33, v2, v33                                 // 000000004534: 16424302
	v_mov_b32_e32 v2, v33                                      // 000000004538: 7E040321
	s_nop 1                                                    // 00000000453C: BF800001
	v_permlane16_swap_b32_e32 v2, v33                          // 000000004540: 7E04B321
	v_max_f32_e32 v33, v2, v33                                 // 000000004544: 16424302
	v_mov_b32_e32 v2, v34                                      // 000000004548: 7E040322
	s_nop 1                                                    // 00000000454C: BF800001
	v_permlane32_swap_b32_e32 v2, v34                          // 000000004550: 7E04B522
	v_max_f32_e32 v34, v2, v34                                 // 000000004554: 16444502
	v_mov_b32_e32 v2, v34                                      // 000000004558: 7E040322
	s_nop 1                                                    // 00000000455C: BF800001
	v_permlane16_swap_b32_e32 v2, v34                          // 000000004560: 7E04B322
	v_max_f32_e32 v34, v2, v34                                 // 000000004564: 16444502
	v_mov_b32_e32 v2, 0x3e800000                               // 000000004568: 7E0402FF 3E800000
	v_mul_f32_e32 v33, v2, v33                                 // 000000004570: 0A424302
	v_mul_f32_e32 v34, v2, v34                                 // 000000004574: 0A444502
	v_mov_b32_e32 v1, 0x7fff0000                               // 000000004578: 7E0202FF 7FFF0000
	v_mov_b32_e32 v5, 0x7fbfffff                               // 000000004580: 7E0A02FF 7FBFFFFF
	v_bfe_u32 v2, v33, 22, 1                                   // 000000004588: D1C80002 02052D21
	v_and_b32_e32 v3, v33, v5                                  // 000000004590: 26060B21
	v_cmp_eq_u32_e64 s[60:61], v3, 0                           // 000000004594: D0CA003C 00010103
	v_cndmask_b32_e64 v4, 1, 0, s[60:61]                       // 00000000459C: D1000004 00F10081
	v_and_b32_e32 v4, v4, v2                                   // 0000000045A4: 26080504
	v_bfe_u32 v5, v33, 23, 8                                   // 0000000045A8: D1C80005 02212F21
	v_add_u32_e32 v5, v5, v4                                   // 0000000045B0: 680A0905
	v_cmp_u_f32_e64 s[60:61], v33, v33                         // 0000000045B4: D048003C 00024321
	v_lshlrev_b32_e32 v33, 23, v5                              // 0000000045BC: 24420A97
	v_cndmask_b32_e64 v33, v33, v1, s[60:61]                   // 0000000045C0: D1000021 00F20321
	v_mov_b32_e32 v5, 0x7fbfffff                               // 0000000045C8: 7E0A02FF 7FBFFFFF
	v_bfe_u32 v2, v34, 22, 1                                   // 0000000045D0: D1C80002 02052D22
	v_and_b32_e32 v3, v34, v5                                  // 0000000045D8: 26060B22
	v_cmp_eq_u32_e64 s[60:61], v3, 0                           // 0000000045DC: D0CA003C 00010103
	v_cndmask_b32_e64 v4, 1, 0, s[60:61]                       // 0000000045E4: D1000004 00F10081
	v_and_b32_e32 v4, v4, v2                                   // 0000000045EC: 26080504
	v_bfe_u32 v5, v34, 23, 8                                   // 0000000045F0: D1C80005 02212F22
	v_add_u32_e32 v5, v5, v4                                   // 0000000045F8: 680A0905
	v_cmp_u_f32_e64 s[60:61], v34, v34                         // 0000000045FC: D048003C 00024522
	v_lshlrev_b32_e32 v34, 23, v5                              // 000000004604: 24440A97
	v_cndmask_b32_e64 v34, v34, v1, s[60:61]                   // 000000004608: D1000022 00F20322
	s_mov_b32 s60, 0xffff                                      // 000000004610: BEBC00FF 0000FFFF
	v_cvt_scalef32_pk_fp4_f32 v52, v52, v53, v33               // 000000004618: D23D0034 04866B34
	v_cvt_scalef32_pk_fp4_f32 v52, v54, v55, v33 op_sel:[0,0,1,0]// 000000004620: D23D2034 04866F36
	v_cvt_scalef32_pk_fp4_f32 v56, v56, v57, v33               // 000000004628: D23D0038 04867338
	v_cvt_scalef32_pk_fp4_f32 v56, v58, v59, v33 op_sel:[0,0,1,0]// 000000004630: D23D2038 0486773A
	s_nop 1                                                    // 000000004638: BF800001
	v_permlane16_swap_b32_e32 v52, v56                         // 00000000463C: 7E68B338
	s_nop 1                                                    // 000000004640: BF800001
	v_and_b32_e64 v52, v52, s60                                // 000000004644: D1130034 00007934
	v_lshlrev_b32_e32 v56, 16, v56                             // 00000000464C: 24707090
	v_or_b32_e32 v52, v52, v56                                 // 000000004650: 28687134
	v_mov_b32_e32 v56, v52                                     // 000000004654: 7E700334
	s_nop 1                                                    // 000000004658: BF800001
	v_permlane32_swap_b32_e32 v52, v56                         // 00000000465C: 7E68B538
	s_nop 1                                                    // 000000004660: BF800001
	v_permlane16_swap_b32_e32 v52, v56                         // 000000004664: 7E68B338
	s_nop 1                                                    // 000000004668: BF800001
	v_permlane32_swap_b32_e32 v52, v56                         // 00000000466C: 7E68B538
	s_nop 1                                                    // 000000004670: BF800001
	v_cvt_scalef32_pk_fp4_f32 v68, v68, v69, v34               // 000000004674: D23D0044 048A8B44
	v_cvt_scalef32_pk_fp4_f32 v68, v70, v71, v34 op_sel:[0,0,1,0]// 00000000467C: D23D2044 048A8F46
	v_cvt_scalef32_pk_fp4_f32 v72, v72, v73, v34               // 000000004684: D23D0048 048A9348
	v_cvt_scalef32_pk_fp4_f32 v72, v74, v75, v34 op_sel:[0,0,1,0]// 00000000468C: D23D2048 048A974A
	s_nop 1                                                    // 000000004694: BF800001
	v_permlane16_swap_b32_e32 v68, v72                         // 000000004698: 7E88B348
	s_nop 1                                                    // 00000000469C: BF800001
	v_and_b32_e64 v68, v68, s60                                // 0000000046A0: D1130044 00007944
	v_lshlrev_b32_e32 v72, 16, v72                             // 0000000046A8: 24909090
	v_or_b32_e32 v68, v68, v72                                 // 0000000046AC: 28889144
	v_mov_b32_e32 v72, v68                                     // 0000000046B0: 7E900344
	s_nop 1                                                    // 0000000046B4: BF800001
	v_permlane32_swap_b32_e32 v68, v72                         // 0000000046B8: 7E88B548
	s_nop 1                                                    // 0000000046BC: BF800001
	v_permlane16_swap_b32_e32 v68, v72                         // 0000000046C0: 7E88B348
	s_nop 1                                                    // 0000000046C4: BF800001
	v_permlane32_swap_b32_e32 v68, v72                         // 0000000046C8: 7E88B548
	s_nop 1                                                    // 0000000046CC: BF800001
	v_lshrrev_b32_e32 v2, 5, v0                                // 0000000046D0: 20040085
	v_lshlrev_b32_e32 v3, 6, v2                                // 0000000046D4: 24060486
	v_and_b32_e32 v2, 31, v0                                   // 0000000046D8: 2604009F
	v_lshrrev_b32_e32 v4, 4, v2                                // 0000000046DC: 20080484
	v_add_u32_e32 v3, v4, v3                                   // 0000000046E0: 68060704
	v_and_b32_e32 v2, 15, v0                                   // 0000000046E4: 2604008F
	v_lshlrev_b32_e32 v2, 1, v2                                // 0000000046E8: 24040481
	v_add_u32_e32 v3, v2, v3                                   // 0000000046EC: 68060702
	v_lshlrev_b32_e32 v2, 2, v3                                // 0000000046F0: 24040682
	s_mov_b32 s60, 0                                           // 0000000046F4: BEBC0080
	s_lshr_b32 s61, s7, 1                                      // 0000000046F8: 8F3D8107
	s_mul_i32 s61, s61, 0x200                                  // 0000000046FC: 923DFF3D 00000200
	s_add_u32 s60, s61, s60                                    // 000000004704: 803C3C3D
	s_and_b32 s61, s7, 1                                       // 000000004708: 863D8107
	s_mul_i32 s61, s61, 0x80                                   // 00000000470C: 923DFF3D 00000080
	s_add_u32 s60, s61, s60                                    // 000000004714: 803C3C3D
	v_add_u32_e64 v2, v2, s60                                  // 000000004718: D1340002 00007902
	ds_write_b32 v2, v44                                       // 000000004720: D81A0000 00002C02
	ds_write_b32 v2, v52 offset:1024                           // 000000004728: D81A0400 00003402
	ds_write_b32 v2, v60 offset:2048                           // 000000004730: D81A0800 00003C02
	ds_write_b32 v2, v68 offset:3072                           // 000000004738: D81A0C00 00004402
	s_waitcnt lgkmcnt(0)                                       // 000000004740: BF8CC07F
	s_barrier                                                  // 000000004744: BF8A0000
	v_and_b32_e32 v2, 31, v0                                   // 000000004748: 2604009F
	v_lshrrev_b32_e32 v2, 4, v2                                // 00000000474C: 20040484
	v_lshlrev_b32_e32 v3, 5, v2                                // 000000004750: 24060485
	v_lshrrev_b32_e32 v2, 5, v0                                // 000000004754: 20040085
	v_lshlrev_b32_e32 v2, 7, v2                                // 000000004758: 24040487
	v_add_u32_e32 v3, v2, v3                                   // 00000000475C: 68060702
	v_and_b32_e32 v2, 15, v0                                   // 000000004760: 2604008F
	v_lshlrev_b32_e32 v2, 1, v2                                // 000000004764: 24040481
	v_add_u32_e32 v3, v2, v3                                   // 000000004768: 68060702
	v_lshlrev_b32_e32 v2, 2, v3                                // 00000000476C: 24040682
	ds_read_b64 v[44:45], v2                                   // 000000004770: D8EC0000 2C000002
	ds_read_b64 v[46:47], v2 offset:256                        // 000000004778: D8EC0100 2E000002
	ds_read_b64 v[48:49], v2 offset:1024                       // 000000004780: D8EC0400 30000002
	ds_read_b64 v[50:51], v2 offset:1280                       // 000000004788: D8EC0500 32000002
	ds_read_b64 v[52:53], v2 offset:2048                       // 000000004790: D8EC0800 34000002
	ds_read_b64 v[54:55], v2 offset:2304                       // 000000004798: D8EC0900 36000002
	ds_read_b64 v[56:57], v2 offset:3072                       // 0000000047A0: D8EC0C00 38000002
	ds_read_b64 v[58:59], v2 offset:3328                       // 0000000047A8: D8EC0D00 3A000002
	s_waitcnt lgkmcnt(0)                                       // 0000000047B0: BF8CC07F
	s_barrier                                                  // 0000000047B4: BF8A0000
	v_lshrrev_b32_e32 v2, 5, v0                                // 0000000047B8: 20040085
	v_lshlrev_b32_e32 v3, 6, v2                                // 0000000047BC: 24060486
	v_and_b32_e32 v2, 31, v0                                   // 0000000047C0: 2604009F
	v_lshrrev_b32_e32 v4, 4, v2                                // 0000000047C4: 20080484
	v_add_u32_e32 v3, v4, v3                                   // 0000000047C8: 68060704
	v_and_b32_e32 v2, 15, v0                                   // 0000000047CC: 2604008F
	v_lshlrev_b32_e32 v2, 1, v2                                // 0000000047D0: 24040481
	v_add_u32_e32 v3, v2, v3                                   // 0000000047D4: 68060702
	v_lshlrev_b32_e32 v2, 2, v3                                // 0000000047D8: 24040682
	s_mov_b32 s60, 0                                           // 0000000047DC: BEBC0080
	s_lshr_b32 s61, s7, 1                                      // 0000000047E0: 8F3D8107
	s_mul_i32 s61, s61, 0x200                                  // 0000000047E4: 923DFF3D 00000200
	s_add_u32 s60, s61, s60                                    // 0000000047EC: 803C3C3D
	s_and_b32 s61, s7, 1                                       // 0000000047F0: 863D8107
	s_mul_i32 s61, s61, 0x80                                   // 0000000047F4: 923DFF3D 00000080
	s_add_u32 s60, s61, s60                                    // 0000000047FC: 803C3C3D
	v_add_u32_e64 v2, v2, s60                                  // 000000004800: D1340002 00007902
	ds_write_b32 v2, v31                                       // 000000004808: D81A0000 00001F02
	ds_write_b32 v2, v33 offset:1024                           // 000000004810: D81A0400 00002102
	ds_write_b32 v2, v32 offset:2048                           // 000000004818: D81A0800 00002002
	ds_write_b32 v2, v34 offset:3072                           // 000000004820: D81A0C00 00002202
	s_waitcnt lgkmcnt(0)                                       // 000000004828: BF8CC07F
	s_barrier                                                  // 00000000482C: BF8A0000
	v_and_b32_e32 v2, 31, v0                                   // 000000004830: 2604009F
	v_lshrrev_b32_e32 v2, 4, v2                                // 000000004834: 20040484
	v_lshlrev_b32_e32 v3, 5, v2                                // 000000004838: 24060485
	v_lshrrev_b32_e32 v2, 5, v0                                // 00000000483C: 20040085
	v_lshlrev_b32_e32 v2, 7, v2                                // 000000004840: 24040487
	v_add_u32_e32 v3, v2, v3                                   // 000000004844: 68060702
	v_and_b32_e32 v2, 15, v0                                   // 000000004848: 2604008F
	v_lshlrev_b32_e32 v2, 1, v2                                // 00000000484C: 24040481
	v_add_u32_e32 v3, v2, v3                                   // 000000004850: 68060702
	v_lshlrev_b32_e32 v2, 2, v3                                // 000000004854: 24040682
	ds_read_b32 v31, v2                                        // 000000004858: D86C0000 1F000002
	ds_read_b32 v33, v2 offset:1024                            // 000000004860: D86C0400 21000002
	ds_read_b32 v32, v2 offset:2048                            // 000000004868: D86C0800 20000002
	ds_read_b32 v34, v2 offset:3072                            // 000000004870: D86C0C00 22000002
	s_waitcnt lgkmcnt(0)                                       // 000000004878: BF8CC07F
	s_barrier                                                  // 00000000487C: BF8A0000
	v_bfe_u32 v31, v31, 23, 8                                  // 000000004880: D1C8001F 02212F1F
	v_bfe_u32 v32, v32, 23, 8                                  // 000000004888: D1C80020 02212F20
	v_bfe_u32 v33, v33, 23, 8                                  // 000000004890: D1C80021 02212F21
	v_bfe_u32 v34, v34, 23, 8                                  // 000000004898: D1C80022 02212F22
	v_mov_b32_e32 v2, 0                                        // 0000000048A0: 7E040280
	v_lshlrev_b32_e32 v31, 0, v31                              // 0000000048A4: 243E3E80
	v_or_b32_e32 v2, v2, v31                                   // 0000000048A8: 28043F02
	v_lshlrev_b32_e32 v32, 8, v32                              // 0000000048AC: 24404088
	v_or_b32_e32 v2, v2, v32                                   // 0000000048B0: 28044102
	v_lshlrev_b32_e32 v33, 16, v33                             // 0000000048B4: 24424290
	v_or_b32_e32 v2, v2, v33                                   // 0000000048B8: 28044302
	v_lshlrev_b32_e32 v34, 24, v34                             // 0000000048BC: 24444498
	v_or_b32_e32 v2, v2, v34                                   // 0000000048C0: 28044502
	v_mov_b32_e32 v31, v2                                      // 0000000048C4: 7E3E0302
	s_add_u32 s12, s56, s12                                    // 0000000048C8: 800C0C38
	s_addc_u32 s13, 0, s13                                     // 0000000048CC: 820D0D80
	s_add_u32 s16, s79, s16                                    // 0000000048D0: 8010104F
	s_addc_u32 s17, 0, s17                                     // 0000000048D4: 82111180
	s_waitcnt lgkmcnt(0)                                       // 0000000048D8: BF8CC07F
	s_barrier                                                  // 0000000048DC: BF8A0000
	v_mov_b32_e32 v108, 0                                      // 0000000048E0: 7ED80280
	v_mov_b32_e32 v140, 0                                      // 0000000048E4: 7F180280
	v_mov_b32_e32 v109, 0                                      // 0000000048E8: 7EDA0280
	v_mov_b32_e32 v141, 0                                      // 0000000048EC: 7F1A0280
	v_mov_b32_e32 v110, 0                                      // 0000000048F0: 7EDC0280
	v_mov_b32_e32 v142, 0                                      // 0000000048F4: 7F1C0280
	v_mov_b32_e32 v111, 0                                      // 0000000048F8: 7EDE0280
	v_mov_b32_e32 v143, 0                                      // 0000000048FC: 7F1E0280
	v_mov_b32_e32 v112, 0                                      // 000000004900: 7EE00280
	v_mov_b32_e32 v144, 0                                      // 000000004904: 7F200280
	v_mov_b32_e32 v113, 0                                      // 000000004908: 7EE20280
	v_mov_b32_e32 v145, 0                                      // 00000000490C: 7F220280
	v_mov_b32_e32 v114, 0                                      // 000000004910: 7EE40280
	v_mov_b32_e32 v146, 0                                      // 000000004914: 7F240280
	v_mov_b32_e32 v115, 0                                      // 000000004918: 7EE60280
	v_mov_b32_e32 v147, 0                                      // 00000000491C: 7F260280
	v_mov_b32_e32 v116, 0                                      // 000000004920: 7EE80280
	v_mov_b32_e32 v148, 0                                      // 000000004924: 7F280280
	v_mov_b32_e32 v117, 0                                      // 000000004928: 7EEA0280
	v_mov_b32_e32 v149, 0                                      // 00000000492C: 7F2A0280
	v_mov_b32_e32 v118, 0                                      // 000000004930: 7EEC0280
	v_mov_b32_e32 v150, 0                                      // 000000004934: 7F2C0280
	v_mov_b32_e32 v119, 0                                      // 000000004938: 7EEE0280
	v_mov_b32_e32 v151, 0                                      // 00000000493C: 7F2E0280
	v_mov_b32_e32 v120, 0                                      // 000000004940: 7EF00280
	v_mov_b32_e32 v152, 0                                      // 000000004944: 7F300280
	v_mov_b32_e32 v121, 0                                      // 000000004948: 7EF20280
	v_mov_b32_e32 v153, 0                                      // 00000000494C: 7F320280
	v_mov_b32_e32 v122, 0                                      // 000000004950: 7EF40280
	v_mov_b32_e32 v154, 0                                      // 000000004954: 7F340280
	v_mov_b32_e32 v123, 0                                      // 000000004958: 7EF60280
	v_mov_b32_e32 v155, 0                                      // 00000000495C: 7F360280
	ds_write_b64 v8, v[108:109]                                // 000000004960: D89A0000 00006C08
	ds_write_b64 v8, v[110:111] offset:8704                    // 000000004968: D89A2200 00006E08
	ds_write_b64 v8, v[112:113] offset:544                     // 000000004970: D89A0220 00007008
	ds_write_b64 v8, v[114:115] offset:9248                    // 000000004978: D89A2420 00007208
	ds_write_b64 v8, v[116:117] offset:4352                    // 000000004980: D89A1100 00007408
	ds_write_b64 v8, v[118:119] offset:13056                   // 000000004988: D89A3300 00007608
	ds_write_b64 v8, v[120:121] offset:4896                    // 000000004990: D89A1320 00007808
	ds_write_b64 v8, v[122:123] offset:13600                   // 000000004998: D89A3520 00007A08
	s_mov_b32 s80, 0                                           // 0000000049A0: BED00080
	s_waitcnt vmcnt(0) expcnt(0) lgkmcnt(0)                    // 0000000049A4: BF8C0000

00000000000049a8 <label_06EA>:
	s_waitcnt vmcnt(22) lgkmcnt(0)                             // 0000000049A8: BF8C4076
	s_barrier                                                  // 0000000049AC: BF8A0000
	v_mfma_scale_f32_16x16x128_f8f6f4 v[108:111], a[0:3], v[44:47], 0, v21, v31 op_sel_hi:[0,0,0] cbsz:4 blgp:4// 0000000049B0: D3AC2000 00023F15 D3AD0C6C 8A025900
	ds_read_b32 v76, v9                                        // 0000000049C0: D86C0000 4C000009
	ds_read_b32 v77, v9 offset:4352                            // 0000000049C8: D86C1100 4D000009
	ds_read_b32 v78, v9 offset:8                               // 0000000049D0: D86C0008 4E000009
	ds_read_b32 v79, v9 offset:4360                            // 0000000049D8: D86C1108 4F000009
	v_mfma_scale_f32_16x16x128_f8f6f4 v[112:115], a[0:3], v[52:55], 0, v21, v31 op_sel_hi:[0,0,0] cbsz:4 blgp:4// 0000000049E0: D3AC7000 00023F15 D3AD0C70 8A026900
	buffer_load_dwordx4 a[32:35], v40, s[12:15], 0 offen       // 0000000049F0: E05C1000 80832028
	v_mfma_scale_f32_16x16x128_f8f6f4 v[116:119], a[4:7], v[44:47], 0, v21, v31 op_sel_hi:[0,0,0] cbsz:4 blgp:4// 0000000049F8: D3AC6800 00023F15 D3AD0C74 8A025904
	ds_read_b32 v80, v9 offset:32                              // 000000004A08: D86C0020 50000009
	ds_read_b32 v81, v9 offset:4384                            // 000000004A10: D86C1120 51000009
	ds_read_b32 v82, v9 offset:40                              // 000000004A18: D86C0028 52000009
	ds_read_b32 v83, v9 offset:4392                            // 000000004A20: D86C1128 53000009
	v_mfma_scale_f32_16x16x128_f8f6f4 v[120:123], a[4:7], v[52:55], 0, v21, v31 op_sel_hi:[0,0,0] cbsz:4 blgp:4// 000000004A28: D3AC7800 00023F15 D3AD0C78 8A026904
	buffer_load_dwordx4 a[36:39], v41, s[12:15], 0 offen       // 000000004A38: E05C1000 80832429
	buffer_load_dword v23, v10, s[16:19], 0 offen              // 000000004A40: E0501000 8004170A
	buffer_load_dword v24, v11, s[16:19], 0 offen              // 000000004A48: E0501000 8004180B
	s_waitcnt vmcnt(24)                                        // 000000004A50: BF8C4F78
	v_mfma_scale_f32_16x16x128_f8f6f4 v[124:127], a[8:11], v[44:47], 0, v22, v31 op_sel_hi:[0,0,0] cbsz:4 blgp:4// 000000004A54: D3AC6000 00023F16 D3AD0C7C 8A025908
	ds_read_b32 v84, v9 offset:8704                            // 000000004A64: D86C2200 54000009
	ds_read_b32 v85, v9 offset:13056                           // 000000004A6C: D86C3300 55000009
	ds_read_b32 v86, v9 offset:8712                            // 000000004A74: D86C2208 56000009
	ds_read_b32 v87, v9 offset:13064                           // 000000004A7C: D86C3308 57000009
	v_mfma_scale_f32_16x16x128_f8f6f4 v[128:131], a[8:11], v[52:55], 0, v22, v31 op_sel_hi:[0,0,0] cbsz:4 blgp:4// 000000004A84: D3AC7000 00023F16 D3AD0C80 8A026908
	buffer_load_dwordx4 a[40:43], v42, s[12:15], 0 offen       // 000000004A94: E05C1000 8083282A
	v_mfma_scale_f32_16x16x128_f8f6f4 v[132:135], a[12:15], v[44:47], 0, v22, v31 op_sel_hi:[0,0,0] cbsz:4 blgp:4// 000000004A9C: D3AC6800 00023F16 D3AD0C84 8A02590C
	ds_read_b32 v88, v9 offset:8736                            // 000000004AAC: D86C2220 58000009
	ds_read_b32 v89, v9 offset:13088                           // 000000004AB4: D86C3320 59000009
	ds_read_b32 v90, v9 offset:8744                            // 000000004ABC: D86C2228 5A000009
	ds_read_b32 v91, v9 offset:13096                           // 000000004AC4: D86C3328 5B000009
	v_mfma_scale_f32_16x16x128_f8f6f4 v[136:139], a[12:15], v[52:55], 0, v22, v31 op_sel_hi:[0,0,0] cbsz:4 blgp:4// 000000004ACC: D3AC7800 00023F16 D3AD0C88 8A02690C
	buffer_load_dwordx4 a[44:47], v43, s[12:15], 0 offen       // 000000004ADC: E05C1000 80832C2B
	s_waitcnt vmcnt(24)                                        // 000000004AE4: BF8C4F78
	v_mfma_scale_f32_16x16x128_f8f6f4 v[108:111], a[16:19], v[48:51], v[108:111], v21, v31 op_sel_hi:[0,0,0] cbsz:4 blgp:4// 000000004AE8: D3AC6000 18023F15 D3AD0C6C 8DB26110
	ds_write_b64 v8, v[140:141] offset:17408                   // 000000004AF8: D89A4400 00008C08
	ds_write_b64 v8, v[142:143] offset:26112                   // 000000004B00: D89A6600 00008E08
	v_mfma_scale_f32_16x16x128_f8f6f4 v[112:115], a[16:19], v[56:59], v[112:115], v21, v31 op_sel_hi:[0,0,0] cbsz:4 blgp:4// 000000004B08: D3AC7000 18023F15 D3AD0C70 8DC27110
	buffer_load_dwordx4 a[48:51], v40, s[12:15], 0 offen offset:1024// 000000004B18: E05C1400 80833028
	v_mfma_scale_f32_16x16x128_f8f6f4 v[116:119], a[20:23], v[48:51], v[116:119], v21, v31 op_sel_hi:[0,0,0] cbsz:4 blgp:4// 000000004B20: D3AC6800 18023F15 D3AD0C74 8DD26114
	ds_write_b64 v8, v[144:145] offset:17952                   // 000000004B30: D89A4620 00009008
	ds_write_b64 v8, v[146:147] offset:26656                   // 000000004B38: D89A6820 00009208
	v_mfma_scale_f32_16x16x128_f8f6f4 v[120:123], a[20:23], v[56:59], v[120:123], v21, v31 op_sel_hi:[0,0,0] cbsz:4 blgp:4// 000000004B40: D3AC7800 18023F15 D3AD0C78 8DE27114
	buffer_load_dwordx4 a[52:55], v41, s[12:15], 0 offen offset:1024// 000000004B50: E05C1400 80833429
	s_waitcnt vmcnt(24)                                        // 000000004B58: BF8C4F78
	v_mfma_scale_f32_16x16x128_f8f6f4 v[124:127], a[24:27], v[48:51], v[124:127], v22, v31 op_sel_hi:[0,0,0] cbsz:4 blgp:4// 000000004B5C: D3AC6000 18023F16 D3AD0C7C 8DF26118
	ds_write_b64 v8, v[148:149] offset:21760                   // 000000004B6C: D89A5500 00009408
	ds_write_b64 v8, v[150:151] offset:30464                   // 000000004B74: D89A7700 00009608
	v_mfma_scale_f32_16x16x128_f8f6f4 v[128:131], a[24:27], v[56:59], v[128:131], v22, v31 op_sel_hi:[0,0,0] cbsz:4 blgp:4// 000000004B7C: D3AC7000 18023F16 D3AD0C80 8E027118
	buffer_load_dwordx4 a[56:59], v42, s[12:15], 0 offen offset:1024// 000000004B8C: E05C1400 8083382A
	v_mfma_scale_f32_16x16x128_f8f6f4 v[132:135], a[28:31], v[48:51], v[132:135], v22, v31 op_sel_hi:[0,0,0] cbsz:4 blgp:4// 000000004B94: D3AC6800 18023F16 D3AD0C84 8E12611C
	ds_write_b64 v8, v[152:153] offset:22304                   // 000000004BA4: D89A5720 00009808
	ds_write_b64 v8, v[154:155] offset:31008                   // 000000004BAC: D89A7920 00009A08
	v_mfma_scale_f32_16x16x128_f8f6f4 v[136:139], a[28:31], v[56:59], v[136:139], v22, v31 op_sel_hi:[0,0,0] cbsz:4 blgp:4// 000000004BB4: D3AC7800 18023F16 D3AD0C88 8E22711C
	buffer_load_dwordx4 a[60:63], v43, s[12:15], 0 offen offset:1024// 000000004BC4: E05C1400 80833C2B
	s_add_u32 s60, 0x200, s80                                  // 000000004BCC: 803C50FF 00000200
	s_cmp_lt_u32 s60, s81                                      // 000000004BD4: BF0A513C
	s_cselect_b32 s56, s56, 0                                  // 000000004BD8: 85388038
	s_cselect_b32 s78, s78, 0                                  // 000000004BDC: 854E804E
	s_cselect_b32 s79, s79, 0                                  // 000000004BE0: 854F804F
	s_add_u32 s12, s56, s12                                    // 000000004BE4: 800C0C38
	s_addc_u32 s13, 0, s13                                     // 000000004BE8: 820D0D80
	s_add_u32 s16, s79, s16                                    // 000000004BEC: 8010104F
	s_addc_u32 s17, 0, s17                                     // 000000004BF0: 82111180
	v_mov_b32_e32 v2, v29                                      // 000000004BF4: 7E04031D
	v_mov_b32_e32 v3, v29                                      // 000000004BF8: 7E06031D
	v_pk_mul_f32 v[108:109], v[2:3], v[108:109]                // 000000004BFC: D3B1406C 1802D902
	v_pk_mul_f32 v[110:111], v[2:3], v[110:111]                // 000000004C04: D3B1406E 1802DD02
	v_pk_mul_f32 v[116:117], v[2:3], v[116:117]                // 000000004C0C: D3B14074 1802E902
	v_pk_mul_f32 v[118:119], v[2:3], v[118:119]                // 000000004C14: D3B14076 1802ED02
	v_pk_mul_f32 v[124:125], v[2:3], v[124:125]                // 000000004C1C: D3B1407C 1802F902
	v_pk_mul_f32 v[126:127], v[2:3], v[126:127]                // 000000004C24: D3B1407E 1802FD02
	v_pk_mul_f32 v[132:133], v[2:3], v[132:133]                // 000000004C2C: D3B14084 18030902
	v_pk_mul_f32 v[134:135], v[2:3], v[134:135]                // 000000004C34: D3B14086 18030D02
	v_mov_b32_e32 v2, v30                                      // 000000004C3C: 7E04031E
	v_mov_b32_e32 v3, v30                                      // 000000004C40: 7E06031E
	v_pk_mul_f32 v[112:113], v[2:3], v[112:113]                // 000000004C44: D3B14070 1802E102
	v_pk_mul_f32 v[114:115], v[2:3], v[114:115]                // 000000004C4C: D3B14072 1802E502
	v_pk_mul_f32 v[120:121], v[2:3], v[120:121]                // 000000004C54: D3B14078 1802F102
	v_pk_mul_f32 v[122:123], v[2:3], v[122:123]                // 000000004C5C: D3B1407A 1802F502
	v_pk_mul_f32 v[128:129], v[2:3], v[128:129]                // 000000004C64: D3B14080 18030102
	v_pk_mul_f32 v[130:131], v[2:3], v[130:131]                // 000000004C6C: D3B14082 18030502
	v_pk_mul_f32 v[136:137], v[2:3], v[136:137]                // 000000004C74: D3B14088 18031102
	v_pk_mul_f32 v[138:139], v[2:3], v[138:139]                // 000000004C7C: D3B1408A 18031502
	v_cvt_pkrtz_f16_f32 v108, v108, v109                       // 000000004C84: D296006C 0002DB6C
	v_cvt_pkrtz_f16_f32 v109, v110, v111                       // 000000004C8C: D296006D 0002DF6E
	v_cvt_pkrtz_f16_f32 v110, v112, v113                       // 000000004C94: D296006E 0002E370
	v_cvt_pkrtz_f16_f32 v111, v114, v115                       // 000000004C9C: D296006F 0002E772
	v_cvt_pkrtz_f16_f32 v112, v116, v117                       // 000000004CA4: D2960070 0002EB74
	v_cvt_pkrtz_f16_f32 v113, v118, v119                       // 000000004CAC: D2960071 0002EF76
	v_cvt_pkrtz_f16_f32 v114, v120, v121                       // 000000004CB4: D2960072 0002F378
	v_cvt_pkrtz_f16_f32 v115, v122, v123                       // 000000004CBC: D2960073 0002F77A
	v_cvt_pkrtz_f16_f32 v116, v124, v125                       // 000000004CC4: D2960074 0002FB7C
	v_cvt_pkrtz_f16_f32 v117, v126, v127                       // 000000004CCC: D2960075 0002FF7E
	v_cvt_pkrtz_f16_f32 v118, v128, v129                       // 000000004CD4: D2960076 00030380
	v_cvt_pkrtz_f16_f32 v119, v130, v131                       // 000000004CDC: D2960077 00030782
	v_cvt_pkrtz_f16_f32 v120, v132, v133                       // 000000004CE4: D2960078 00030B84
	v_cvt_pkrtz_f16_f32 v121, v134, v135                       // 000000004CEC: D2960079 00030F86
	v_cvt_pkrtz_f16_f32 v122, v136, v137                       // 000000004CF4: D296007A 00031388
	v_cvt_pkrtz_f16_f32 v123, v138, v139                       // 000000004CFC: D296007B 0003178A
	s_cmp_ge_u32 s80, 0x200                                    // 000000004D04: BF09FF50 00000200
	s_cselect_b32 s59, 0x200, s59                              // 000000004D0C: 853B3BFF 00000200
	s_mov_b64 exec, s[20:21]                                   // 000000004D14: BEFE0114
	global_atomic_pk_add_f16 v92, v76, s[8:9]                  // 000000004D18: DD388000 00084C5C
	s_mov_b64 exec, s[36:37]                                   // 000000004D20: BEFE0124
	s_mov_b64 exec, s[20:21]                                   // 000000004D24: BEFE0114
	global_atomic_pk_add_f16 v92, v77, s[8:9] offset:256       // 000000004D28: DD388100 00084D5C
	s_mov_b64 exec, s[36:37]                                   // 000000004D30: BEFE0124
	s_mov_b64 exec, s[22:23]                                   // 000000004D34: BEFE0116
	global_atomic_pk_add_f16 v94, v78, s[8:9]                  // 000000004D38: DD388000 00084E5E
	s_mov_b64 exec, s[36:37]                                   // 000000004D40: BEFE0124
	s_mov_b64 exec, s[22:23]                                   // 000000004D44: BEFE0116
	global_atomic_pk_add_f16 v94, v79, s[8:9] offset:256       // 000000004D48: DD388100 00084F5E
	s_mov_b64 exec, s[36:37]                                   // 000000004D50: BEFE0124
	s_mov_b64 exec, s[24:25]                                   // 000000004D54: BEFE0118
	global_atomic_pk_add_f16 v96, v80, s[8:9]                  // 000000004D58: DD388000 00085060
	s_mov_b64 exec, s[36:37]                                   // 000000004D60: BEFE0124
	s_mov_b64 exec, s[24:25]                                   // 000000004D64: BEFE0118
	global_atomic_pk_add_f16 v96, v81, s[8:9] offset:256       // 000000004D68: DD388100 00085160
	s_mov_b64 exec, s[36:37]                                   // 000000004D70: BEFE0124
	s_mov_b64 exec, s[26:27]                                   // 000000004D74: BEFE011A
	global_atomic_pk_add_f16 v98, v82, s[8:9]                  // 000000004D78: DD388000 00085262
	s_mov_b64 exec, s[36:37]                                   // 000000004D80: BEFE0124
	s_mov_b64 exec, s[26:27]                                   // 000000004D84: BEFE011A
	global_atomic_pk_add_f16 v98, v83, s[8:9] offset:256       // 000000004D88: DD388100 00085362
	s_mov_b64 exec, s[36:37]                                   // 000000004D90: BEFE0124
	s_mov_b64 exec, s[28:29]                                   // 000000004D94: BEFE011C
	global_atomic_pk_add_f16 v100, v84, s[8:9]                 // 000000004D98: DD388000 00085464
	s_mov_b64 exec, s[36:37]                                   // 000000004DA0: BEFE0124
	s_mov_b64 exec, s[28:29]                                   // 000000004DA4: BEFE011C
	global_atomic_pk_add_f16 v100, v85, s[8:9] offset:256      // 000000004DA8: DD388100 00085564
	s_mov_b64 exec, s[36:37]                                   // 000000004DB0: BEFE0124
	s_mov_b64 exec, s[30:31]                                   // 000000004DB4: BEFE011E
	global_atomic_pk_add_f16 v102, v86, s[8:9]                 // 000000004DB8: DD388000 00085666
	s_mov_b64 exec, s[36:37]                                   // 000000004DC0: BEFE0124
	s_mov_b64 exec, s[30:31]                                   // 000000004DC4: BEFE011E
	global_atomic_pk_add_f16 v102, v87, s[8:9] offset:256      // 000000004DC8: DD388100 00085766
	s_mov_b64 exec, s[36:37]                                   // 000000004DD0: BEFE0124
	s_mov_b64 exec, s[32:33]                                   // 000000004DD4: BEFE0120
	global_atomic_pk_add_f16 v104, v88, s[8:9]                 // 000000004DD8: DD388000 00085868
	s_mov_b64 exec, s[36:37]                                   // 000000004DE0: BEFE0124
	s_mov_b64 exec, s[32:33]                                   // 000000004DE4: BEFE0120
	global_atomic_pk_add_f16 v104, v89, s[8:9] offset:256      // 000000004DE8: DD388100 00085968
	s_mov_b64 exec, s[36:37]                                   // 000000004DF0: BEFE0124
	s_mov_b64 exec, s[34:35]                                   // 000000004DF4: BEFE0122
	global_atomic_pk_add_f16 v106, v90, s[8:9]                 // 000000004DF8: DD388000 00085A6A
	s_mov_b64 exec, s[36:37]                                   // 000000004E00: BEFE0124
	s_mov_b64 exec, s[34:35]                                   // 000000004E04: BEFE0122
	global_atomic_pk_add_f16 v106, v91, s[8:9] offset:256      // 000000004E08: DD388100 00085B6A
	s_mov_b64 exec, s[36:37]                                   // 000000004E10: BEFE0124
	s_add_u32 s8, s59, s8                                      // 000000004E14: 8008083B
	s_addc_u32 s9, 0, s9                                       // 000000004E18: 82090980
	s_addk_i32 s80, 0x100                                      // 000000004E1C: B7500100
	s_cmp_lt_i32 s80, s81                                      // 000000004E20: BF045150
	s_cbranch_scc0 label_092B                                  // 000000004E24: BF840121
	s_waitcnt vmcnt(22) lgkmcnt(0)                             // 000000004E28: BF8C4076
	s_barrier                                                  // 000000004E2C: BF8A0000
	v_mfma_scale_f32_16x16x128_f8f6f4 v[140:143], a[32:35], v[44:47], 0, v23, v31 op_sel_hi:[0,0,0] cbsz:4 blgp:4// 000000004E30: D3AC6000 00023F17 D3AD0C8C 8A025920
	ds_read_b32 v76, v9 offset:17408                           // 000000004E40: D86C4400 4C000009
	ds_read_b32 v77, v9 offset:21760                           // 000000004E48: D86C5500 4D000009
	ds_read_b32 v78, v9 offset:17416                           // 000000004E50: D86C4408 4E000009
	ds_read_b32 v79, v9 offset:21768                           // 000000004E58: D86C5508 4F000009
	v_mfma_scale_f32_16x16x128_f8f6f4 v[144:147], a[32:35], v[52:55], 0, v23, v31 op_sel_hi:[0,0,0] cbsz:4 blgp:4// 000000004E60: D3AC7000 00023F17 D3AD0C90 8A026920
	buffer_load_dwordx4 a[0:3], v40, s[12:15], 0 offen         // 000000004E70: E05C1000 80830028
	v_mfma_scale_f32_16x16x128_f8f6f4 v[148:151], a[36:39], v[44:47], 0, v23, v31 op_sel_hi:[0,0,0] cbsz:4 blgp:4// 000000004E78: D3AC0800 00023F17 D3AD0C94 8A025924
	ds_read_b32 v80, v9 offset:17440                           // 000000004E88: D86C4420 50000009
	ds_read_b32 v81, v9 offset:21792                           // 000000004E90: D86C5520 51000009
	ds_read_b32 v82, v9 offset:17448                           // 000000004E98: D86C4428 52000009
	ds_read_b32 v83, v9 offset:21800                           // 000000004EA0: D86C5528 53000009
	v_mfma_scale_f32_16x16x128_f8f6f4 v[152:155], a[36:39], v[52:55], 0, v23, v31 op_sel_hi:[0,0,0] cbsz:4 blgp:4// 000000004EA8: D3AC7800 00023F17 D3AD0C98 8A026924
	buffer_load_dwordx4 a[4:7], v41, s[12:15], 0 offen         // 000000004EB8: E05C1000 80830429
	buffer_load_dword v21, v10, s[16:19], 0 offen              // 000000004EC0: E0501000 8004150A
	buffer_load_dword v22, v11, s[16:19], 0 offen              // 000000004EC8: E0501000 8004160B
	s_waitcnt vmcnt(24)                                        // 000000004ED0: BF8C4F78
	v_mfma_scale_f32_16x16x128_f8f6f4 v[156:159], a[40:43], v[44:47], 0, v24, v31 op_sel_hi:[0,0,0] cbsz:4 blgp:4// 000000004ED4: D3AC6000 00023F18 D3AD0C9C 8A025928
	ds_read_b32 v84, v9 offset:26112                           // 000000004EE4: D86C6600 54000009
	ds_read_b32 v85, v9 offset:30464                           // 000000004EEC: D86C7700 55000009
	ds_read_b32 v86, v9 offset:26120                           // 000000004EF4: D86C6608 56000009
	ds_read_b32 v87, v9 offset:30472                           // 000000004EFC: D86C7708 57000009
	v_mfma_scale_f32_16x16x128_f8f6f4 v[160:163], a[40:43], v[52:55], 0, v24, v31 op_sel_hi:[0,0,0] cbsz:4 blgp:4// 000000004F04: D3AC7000 00023F18 D3AD0CA0 8A026928
	buffer_load_dwordx4 a[8:11], v42, s[12:15], 0 offen        // 000000004F14: E05C1000 8083082A
	v_mfma_scale_f32_16x16x128_f8f6f4 v[164:167], a[44:47], v[44:47], 0, v24, v31 op_sel_hi:[0,0,0] cbsz:4 blgp:4// 000000004F1C: D3AC6800 00023F18 D3AD0CA4 8A02592C
	ds_read_b32 v88, v9 offset:26144                           // 000000004F2C: D86C6620 58000009
	ds_read_b32 v89, v9 offset:30496                           // 000000004F34: D86C7720 59000009
	ds_read_b32 v90, v9 offset:26152                           // 000000004F3C: D86C6628 5A000009
	ds_read_b32 v91, v9 offset:30504                           // 000000004F44: D86C7728 5B000009
	v_mfma_scale_f32_16x16x128_f8f6f4 v[168:171], a[44:47], v[52:55], 0, v24, v31 op_sel_hi:[0,0,0] cbsz:4 blgp:4// 000000004F4C: D3AC7800 00023F18 D3AD0CA8 8A02692C
	buffer_load_dwordx4 a[12:15], v43, s[12:15], 0 offen       // 000000004F5C: E05C1000 80830C2B
	s_waitcnt vmcnt(24)                                        // 000000004F64: BF8C4F78
	v_mfma_scale_f32_16x16x128_f8f6f4 v[140:143], a[48:51], v[48:51], v[140:143], v23, v31 op_sel_hi:[0,0,0] cbsz:4 blgp:4// 000000004F68: D3AC6000 18023F17 D3AD0C8C 8E326130
	ds_write_b64 v8, v[108:109]                                // 000000004F78: D89A0000 00006C08
	ds_write_b64 v8, v[110:111] offset:8704                    // 000000004F80: D89A2200 00006E08
	v_mfma_scale_f32_16x16x128_f8f6f4 v[144:147], a[48:51], v[56:59], v[144:147], v23, v31 op_sel_hi:[0,0,0] cbsz:4 blgp:4// 000000004F88: D3AC7000 18023F17 D3AD0C90 8E427130
	buffer_load_dwordx4 a[16:19], v40, s[12:15], 0 offen offset:1024// 000000004F98: E05C1400 80831028
	v_mfma_scale_f32_16x16x128_f8f6f4 v[148:151], a[52:55], v[48:51], v[148:151], v23, v31 op_sel_hi:[0,0,0] cbsz:4 blgp:4// 000000004FA0: D3AC6800 18023F17 D3AD0C94 8E526134
	ds_write_b64 v8, v[112:113] offset:544                     // 000000004FB0: D89A0220 00007008
	ds_write_b64 v8, v[114:115] offset:9248                    // 000000004FB8: D89A2420 00007208
	v_mfma_scale_f32_16x16x128_f8f6f4 v[152:155], a[52:55], v[56:59], v[152:155], v23, v31 op_sel_hi:[0,0,0] cbsz:4 blgp:4// 000000004FC0: D3AC7800 18023F17 D3AD0C98 8E627134
	buffer_load_dwordx4 a[20:23], v41, s[12:15], 0 offen offset:1024// 000000004FD0: E05C1400 80831429
	s_waitcnt vmcnt(24)                                        // 000000004FD8: BF8C4F78
	v_mfma_scale_f32_16x16x128_f8f6f4 v[156:159], a[56:59], v[48:51], v[156:159], v24, v31 op_sel_hi:[0,0,0] cbsz:4 blgp:4// 000000004FDC: D3AC6000 18023F18 D3AD0C9C 8E726138
	ds_write_b64 v8, v[116:117] offset:4352                    // 000000004FEC: D89A1100 00007408
	ds_write_b64 v8, v[118:119] offset:13056                   // 000000004FF4: D89A3300 00007608
	v_mfma_scale_f32_16x16x128_f8f6f4 v[160:163], a[56:59], v[56:59], v[160:163], v24, v31 op_sel_hi:[0,0,0] cbsz:4 blgp:4// 000000004FFC: D3AC7000 18023F18 D3AD0CA0 8E827138
	buffer_load_dwordx4 a[24:27], v42, s[12:15], 0 offen offset:1024// 00000000500C: E05C1400 8083182A
	v_mfma_scale_f32_16x16x128_f8f6f4 v[164:167], a[60:63], v[48:51], v[164:167], v24, v31 op_sel_hi:[0,0,0] cbsz:4 blgp:4// 000000005014: D3AC6800 18023F18 D3AD0CA4 8E92613C
	ds_write_b64 v8, v[120:121] offset:4896                    // 000000005024: D89A1320 00007808
	ds_write_b64 v8, v[122:123] offset:13600                   // 00000000502C: D89A3520 00007A08
	v_mfma_scale_f32_16x16x128_f8f6f4 v[168:171], a[60:63], v[56:59], v[168:171], v24, v31 op_sel_hi:[0,0,0] cbsz:4 blgp:4// 000000005034: D3AC7800 18023F18 D3AD0CA8 8EA2713C
	buffer_load_dwordx4 a[28:31], v43, s[12:15], 0 offen offset:1024// 000000005044: E05C1400 80831C2B
	s_add_u32 s60, 0x200, s80                                  // 00000000504C: 803C50FF 00000200
	s_cmp_lt_u32 s60, s81                                      // 000000005054: BF0A513C
	s_cselect_b32 s56, s56, 0                                  // 000000005058: 85388038
	s_cselect_b32 s78, s78, 0                                  // 00000000505C: 854E804E
	s_cselect_b32 s79, s79, 0                                  // 000000005060: 854F804F
	s_add_u32 s12, s56, s12                                    // 000000005064: 800C0C38
	s_addc_u32 s13, 0, s13                                     // 000000005068: 820D0D80
	s_add_u32 s16, s79, s16                                    // 00000000506C: 8010104F
	s_addc_u32 s17, 0, s17                                     // 000000005070: 82111180
	v_mov_b32_e32 v2, v29                                      // 000000005074: 7E04031D
	v_mov_b32_e32 v3, v29                                      // 000000005078: 7E06031D
	v_pk_mul_f32 v[140:141], v[2:3], v[140:141]                // 00000000507C: D3B1408C 18031902
	v_pk_mul_f32 v[142:143], v[2:3], v[142:143]                // 000000005084: D3B1408E 18031D02
	v_pk_mul_f32 v[148:149], v[2:3], v[148:149]                // 00000000508C: D3B14094 18032902
	v_pk_mul_f32 v[150:151], v[2:3], v[150:151]                // 000000005094: D3B14096 18032D02
	v_pk_mul_f32 v[156:157], v[2:3], v[156:157]                // 00000000509C: D3B1409C 18033902
	v_pk_mul_f32 v[158:159], v[2:3], v[158:159]                // 0000000050A4: D3B1409E 18033D02
	v_pk_mul_f32 v[164:165], v[2:3], v[164:165]                // 0000000050AC: D3B140A4 18034902
	v_pk_mul_f32 v[166:167], v[2:3], v[166:167]                // 0000000050B4: D3B140A6 18034D02
	v_mov_b32_e32 v2, v30                                      // 0000000050BC: 7E04031E
	v_mov_b32_e32 v3, v30                                      // 0000000050C0: 7E06031E
	v_pk_mul_f32 v[144:145], v[2:3], v[144:145]                // 0000000050C4: D3B14090 18032102
	v_pk_mul_f32 v[146:147], v[2:3], v[146:147]                // 0000000050CC: D3B14092 18032502
	v_pk_mul_f32 v[152:153], v[2:3], v[152:153]                // 0000000050D4: D3B14098 18033102
	v_pk_mul_f32 v[154:155], v[2:3], v[154:155]                // 0000000050DC: D3B1409A 18033502
	v_pk_mul_f32 v[160:161], v[2:3], v[160:161]                // 0000000050E4: D3B140A0 18034102
	v_pk_mul_f32 v[162:163], v[2:3], v[162:163]                // 0000000050EC: D3B140A2 18034502
	v_pk_mul_f32 v[168:169], v[2:3], v[168:169]                // 0000000050F4: D3B140A8 18035102
	v_pk_mul_f32 v[170:171], v[2:3], v[170:171]                // 0000000050FC: D3B140AA 18035502
	v_cvt_pkrtz_f16_f32 v140, v140, v141                       // 000000005104: D296008C 00031B8C
	v_cvt_pkrtz_f16_f32 v141, v142, v143                       // 00000000510C: D296008D 00031F8E
	v_cvt_pkrtz_f16_f32 v142, v144, v145                       // 000000005114: D296008E 00032390
	v_cvt_pkrtz_f16_f32 v143, v146, v147                       // 00000000511C: D296008F 00032792
	v_cvt_pkrtz_f16_f32 v144, v148, v149                       // 000000005124: D2960090 00032B94
	v_cvt_pkrtz_f16_f32 v145, v150, v151                       // 00000000512C: D2960091 00032F96
	v_cvt_pkrtz_f16_f32 v146, v152, v153                       // 000000005134: D2960092 00033398
	v_cvt_pkrtz_f16_f32 v147, v154, v155                       // 00000000513C: D2960093 0003379A
	v_cvt_pkrtz_f16_f32 v148, v156, v157                       // 000000005144: D2960094 00033B9C
	v_cvt_pkrtz_f16_f32 v149, v158, v159                       // 00000000514C: D2960095 00033F9E
	v_cvt_pkrtz_f16_f32 v150, v160, v161                       // 000000005154: D2960096 000343A0
	v_cvt_pkrtz_f16_f32 v151, v162, v163                       // 00000000515C: D2960097 000347A2
	v_cvt_pkrtz_f16_f32 v152, v164, v165                       // 000000005164: D2960098 00034BA4
	v_cvt_pkrtz_f16_f32 v153, v166, v167                       // 00000000516C: D2960099 00034FA6
	v_cvt_pkrtz_f16_f32 v154, v168, v169                       // 000000005174: D296009A 000353A8
	v_cvt_pkrtz_f16_f32 v155, v170, v171                       // 00000000517C: D296009B 000357AA
	s_cmp_ge_u32 s80, 0x200                                    // 000000005184: BF09FF50 00000200
	s_cselect_b32 s59, 0x200, s59                              // 00000000518C: 853B3BFF 00000200
	s_mov_b64 exec, s[20:21]                                   // 000000005194: BEFE0114
	global_atomic_pk_add_f16 v92, v76, s[8:9]                  // 000000005198: DD388000 00084C5C
	s_mov_b64 exec, s[36:37]                                   // 0000000051A0: BEFE0124
	s_mov_b64 exec, s[20:21]                                   // 0000000051A4: BEFE0114
	global_atomic_pk_add_f16 v92, v77, s[8:9] offset:256       // 0000000051A8: DD388100 00084D5C
	s_mov_b64 exec, s[36:37]                                   // 0000000051B0: BEFE0124
	s_mov_b64 exec, s[22:23]                                   // 0000000051B4: BEFE0116
	global_atomic_pk_add_f16 v94, v78, s[8:9]                  // 0000000051B8: DD388000 00084E5E
	s_mov_b64 exec, s[36:37]                                   // 0000000051C0: BEFE0124
	s_mov_b64 exec, s[22:23]                                   // 0000000051C4: BEFE0116
	global_atomic_pk_add_f16 v94, v79, s[8:9] offset:256       // 0000000051C8: DD388100 00084F5E
	s_mov_b64 exec, s[36:37]                                   // 0000000051D0: BEFE0124
	s_mov_b64 exec, s[24:25]                                   // 0000000051D4: BEFE0118
	global_atomic_pk_add_f16 v96, v80, s[8:9]                  // 0000000051D8: DD388000 00085060
	s_mov_b64 exec, s[36:37]                                   // 0000000051E0: BEFE0124
	s_mov_b64 exec, s[24:25]                                   // 0000000051E4: BEFE0118
	global_atomic_pk_add_f16 v96, v81, s[8:9] offset:256       // 0000000051E8: DD388100 00085160
	s_mov_b64 exec, s[36:37]                                   // 0000000051F0: BEFE0124
	s_mov_b64 exec, s[26:27]                                   // 0000000051F4: BEFE011A
	global_atomic_pk_add_f16 v98, v82, s[8:9]                  // 0000000051F8: DD388000 00085262
	s_mov_b64 exec, s[36:37]                                   // 000000005200: BEFE0124
	s_mov_b64 exec, s[26:27]                                   // 000000005204: BEFE011A
	global_atomic_pk_add_f16 v98, v83, s[8:9] offset:256       // 000000005208: DD388100 00085362
	s_mov_b64 exec, s[36:37]                                   // 000000005210: BEFE0124
	s_mov_b64 exec, s[28:29]                                   // 000000005214: BEFE011C
	global_atomic_pk_add_f16 v100, v84, s[8:9]                 // 000000005218: DD388000 00085464
	s_mov_b64 exec, s[36:37]                                   // 000000005220: BEFE0124
	s_mov_b64 exec, s[28:29]                                   // 000000005224: BEFE011C
	global_atomic_pk_add_f16 v100, v85, s[8:9] offset:256      // 000000005228: DD388100 00085564
	s_mov_b64 exec, s[36:37]                                   // 000000005230: BEFE0124
	s_mov_b64 exec, s[30:31]                                   // 000000005234: BEFE011E
	global_atomic_pk_add_f16 v102, v86, s[8:9]                 // 000000005238: DD388000 00085666
	s_mov_b64 exec, s[36:37]                                   // 000000005240: BEFE0124
	s_mov_b64 exec, s[30:31]                                   // 000000005244: BEFE011E
	global_atomic_pk_add_f16 v102, v87, s[8:9] offset:256      // 000000005248: DD388100 00085766
	s_mov_b64 exec, s[36:37]                                   // 000000005250: BEFE0124
	s_mov_b64 exec, s[32:33]                                   // 000000005254: BEFE0120
	global_atomic_pk_add_f16 v104, v88, s[8:9]                 // 000000005258: DD388000 00085868
	s_mov_b64 exec, s[36:37]                                   // 000000005260: BEFE0124
	s_mov_b64 exec, s[32:33]                                   // 000000005264: BEFE0120
	global_atomic_pk_add_f16 v104, v89, s[8:9] offset:256      // 000000005268: DD388100 00085968
	s_mov_b64 exec, s[36:37]                                   // 000000005270: BEFE0124
	s_mov_b64 exec, s[34:35]                                   // 000000005274: BEFE0122
	global_atomic_pk_add_f16 v106, v90, s[8:9]                 // 000000005278: DD388000 00085A6A
	s_mov_b64 exec, s[36:37]                                   // 000000005280: BEFE0124
	s_mov_b64 exec, s[34:35]                                   // 000000005284: BEFE0122
	global_atomic_pk_add_f16 v106, v91, s[8:9] offset:256      // 000000005288: DD388100 00085B6A
	s_mov_b64 exec, s[36:37]                                   // 000000005290: BEFE0124
	s_add_u32 s8, s59, s8                                      // 000000005294: 8008083B
	s_addc_u32 s9, 0, s9                                       // 000000005298: 82090980
	s_addk_i32 s80, 0x100                                      // 00000000529C: B7500100
	s_cmp_lt_i32 s80, s81                                      // 0000000052A0: BF045150
	s_cbranch_scc0 label_092B                                  // 0000000052A4: BF840001
	s_branch label_06EA                                        // 0000000052A8: BF82FDBF

00000000000052ac <label_092B>:
	s_nop 0                                                    // 0000000052AC: BF800000
	s_nop 0                                                    // 0000000052B0: BF800000
	s_branch label_1028                                        // 0000000052B4: BF8206FA

00000000000052b8 <label_092E>:
	s_waitcnt vmcnt(6) lgkmcnt(0)                              // 0000000052B8: BF8C0076
	s_barrier                                                  // 0000000052BC: BF8A0000
	v_mfma_scale_f32_16x16x128_f8f6f4 v[44:47], a[0:3], v[108:111], v[44:47], v21, v19 op_sel_hi:[0,0,0] cbsz:4 blgp:4// 0000000052C0: D3AC6000 00022715 D3AD0C2C 8CB2D900
	buffer_load_dwordx4 a[32:35], v36, s[92:95], 0 offen       // 0000000052D0: E05C1000 80972024
	buffer_load_dwordx4 v35, s[20:23], 0 offen lds             // 0000000052D8: E05D1000 80050023
	s_add_u32 m0, 0, s50                                       // 0000000052E0: 807C3280
	v_mfma_scale_f32_16x16x128_f8f6f4 v[60:63], a[0:3], v[116:119], v[60:63], v21, v19 op_sel_hi:[0,0,0] cbsz:4 blgp:4// 0000000052E4: D3AC7000 00022715 D3AD0C3C 8CF2E900
	v_mfma_scale_f32_16x16x128_f8f6f4 v[48:51], a[4:7], v[108:111], v[48:51], v21, v19 op_sel_hi:[0,0,0] cbsz:4 blgp:4// 0000000052F4: D3AC6800 00022715 D3AD0C30 8CC2D904
	buffer_load_dwordx4 a[36:39], v37, s[92:95], 0 offen       // 000000005304: E05C1000 80972425
	buffer_load_dword v20, v12, s[28:31], 0 offen              // 00000000530C: E0501000 8007140C
	buffer_load_dword v25, v17, s[32:35], 0 offen              // 000000005314: E0501000 80081911
	buffer_load_dword v26, v18, s[32:35], 0 offen              // 00000000531C: E0501000 80081A12
	v_mfma_scale_f32_16x16x128_f8f6f4 v[64:67], a[4:7], v[116:119], v[64:67], v21, v19 op_sel_hi:[0,0,0] cbsz:4 blgp:4// 000000005324: D3AC7800 00022715 D3AD0C40 8D02E904
	s_waitcnt vmcnt(10)                                        // 000000005334: BF8C0F7A
	v_mfma_scale_f32_16x16x128_f8f6f4 v[52:55], a[8:11], v[108:111], v[52:55], v22, v19 op_sel_hi:[0,0,0] cbsz:4 blgp:4// 000000005338: D3AC6000 00022716 D3AD0C34 8CD2D908
	buffer_load_dwordx4 a[40:43], v38, s[92:95], 0 offen       // 000000005348: E05C1000 80972826
	v_mfma_scale_f32_16x16x128_f8f6f4 v[68:71], a[8:11], v[116:119], v[68:71], v22, v19 op_sel_hi:[0,0,0] cbsz:4 blgp:4// 000000005350: D3AC7000 00022716 D3AD0C44 8D12E908
	v_mfma_scale_f32_16x16x128_f8f6f4 v[56:59], a[12:15], v[108:111], v[56:59], v22, v19 op_sel_hi:[0,0,0] cbsz:4 blgp:4// 000000005360: D3AC6800 00022716 D3AD0C38 8CE2D90C
	buffer_load_dwordx4 a[44:47], v39, s[92:95], 0 offen       // 000000005370: E05C1000 80972C27
	v_mfma_scale_f32_16x16x128_f8f6f4 v[72:75], a[12:15], v[116:119], v[72:75], v22, v19 op_sel_hi:[0,0,0] cbsz:4 blgp:4// 000000005378: D3AC7800 00022716 D3AD0C48 8D22E90C
	s_nop 0                                                    // 000000005388: BF800000
	s_waitcnt vmcnt(10)                                        // 00000000538C: BF8C0F7A
	v_mfma_scale_f32_16x16x128_f8f6f4 v[44:47], a[16:19], v[112:115], v[44:47], v21, v19 op_sel_hi:[0,0,0] cbsz:4 blgp:4// 000000005390: D3AC6000 18022715 D3AD0C2C 8CB2E110
	buffer_load_dwordx4 a[48:51], v36, s[92:95], 0 offen offset:1024// 0000000053A0: E05C1400 80973024
	v_mfma_scale_f32_16x16x128_f8f6f4 v[60:63], a[16:19], v[120:123], v[60:63], v21, v19 op_sel_hi:[0,0,0] cbsz:4 blgp:4// 0000000053A8: D3AC7000 18022715 D3AD0C3C 8CF2F110
	v_mfma_scale_f32_16x16x128_f8f6f4 v[48:51], a[20:23], v[112:115], v[48:51], v21, v19 op_sel_hi:[0,0,0] cbsz:4 blgp:4// 0000000053B8: D3AC6800 18022715 D3AD0C30 8CC2E114
	buffer_load_dwordx4 a[52:55], v37, s[92:95], 0 offen offset:1024// 0000000053C8: E05C1400 80973425
	v_mfma_scale_f32_16x16x128_f8f6f4 v[64:67], a[20:23], v[120:123], v[64:67], v21, v19 op_sel_hi:[0,0,0] cbsz:4 blgp:4// 0000000053D0: D3AC7800 18022715 D3AD0C40 8D02F114
	s_waitcnt vmcnt(10)                                        // 0000000053E0: BF8C0F7A
	v_mfma_scale_f32_16x16x128_f8f6f4 v[52:55], a[24:27], v[112:115], v[52:55], v22, v19 op_sel_hi:[0,0,0] cbsz:4 blgp:4// 0000000053E4: D3AC6000 18022716 D3AD0C34 8CD2E118
	buffer_load_dwordx4 a[56:59], v38, s[92:95], 0 offen offset:1024// 0000000053F4: E05C1400 80973826
	v_mfma_scale_f32_16x16x128_f8f6f4 v[68:71], a[24:27], v[120:123], v[68:71], v22, v19 op_sel_hi:[0,0,0] cbsz:4 blgp:4// 0000000053FC: D3AC7000 18022716 D3AD0C44 8D12F118
	v_mfma_scale_f32_16x16x128_f8f6f4 v[56:59], a[28:31], v[112:115], v[56:59], v22, v19 op_sel_hi:[0,0,0] cbsz:4 blgp:4// 00000000540C: D3AC6800 18022716 D3AD0C38 8CE2E11C
	buffer_load_dwordx4 a[60:63], v39, s[92:95], 0 offen offset:1024// 00000000541C: E05C1400 80973C27
	v_mfma_scale_f32_16x16x128_f8f6f4 v[72:75], a[28:31], v[120:123], v[72:75], v22, v19 op_sel_hi:[0,0,0] cbsz:4 blgp:4// 000000005424: D3AC7800 18022716 D3AD0C48 8D22F11C
	s_add_u32 s60, 0x100, s80                                  // 000000005434: 803C50FF 00000100
	s_cmp_lt_u32 s60, s81                                      // 00000000543C: BF0A513C
	s_cselect_b32 s4, s4, 0                                    // 000000005440: 85048004
	s_add_u32 s32, s4, s32                                     // 000000005444: 80202004
	s_addc_u32 s33, 0, s33                                     // 000000005448: 82212180
	s_waitcnt vmcnt(6)                                         // 00000000544C: BF8C0F76
	s_barrier                                                  // 000000005450: BF8A0000
	v_mfma_scale_f32_16x16x128_f8f6f4 v[76:79], a[32:35], v[108:111], v[76:79], v25, v19 op_sel_hi:[0,0,0] cbsz:4 blgp:4// 000000005454: D3AC6000 00022719 D3AD0C4C 8D32D920
	buffer_load_dwordx4 a[0:3], v36, s[24:27], 0 offen         // 000000005464: E05C1000 80860024
	buffer_load_dword v23, v15, s[32:35], 0 offen              // 00000000546C: E0501000 8008170F
	buffer_load_dword v24, v16, s[32:35], 0 offen              // 000000005474: E0501000 80081810
	v_mfma_scale_f32_16x16x128_f8f6f4 v[92:95], a[32:35], v[116:119], v[92:95], v25, v19 op_sel_hi:[0,0,0] cbsz:4 blgp:4// 00000000547C: D3AC7000 00022719 D3AD0C5C 8D72E920
	v_mfma_scale_f32_16x16x128_f8f6f4 v[80:83], a[36:39], v[108:111], v[80:83], v25, v19 op_sel_hi:[0,0,0] cbsz:4 blgp:4// 00000000548C: D3AC6800 00022719 D3AD0C50 8D42D924
	buffer_load_dwordx4 a[4:7], v37, s[24:27], 0 offen         // 00000000549C: E05C1000 80860425
	v_mfma_scale_f32_16x16x128_f8f6f4 v[96:99], a[36:39], v[116:119], v[96:99], v25, v19 op_sel_hi:[0,0,0] cbsz:4 blgp:4// 0000000054A4: D3AC7800 00022719 D3AD0C60 8D82E924
	s_waitcnt vmcnt(8)                                         // 0000000054B4: BF8C0F78
	v_mfma_scale_f32_16x16x128_f8f6f4 v[84:87], a[40:43], v[108:111], v[84:87], v26, v19 op_sel_hi:[0,0,0] cbsz:4 blgp:4// 0000000054B8: D3AC6000 0002271A D3AD0C54 8D52D928
	buffer_load_dwordx4 a[8:11], v38, s[24:27], 0 offen        // 0000000054C8: E05C1000 80860826
	v_mfma_scale_f32_16x16x128_f8f6f4 v[100:103], a[40:43], v[116:119], v[100:103], v26, v19 op_sel_hi:[0,0,0] cbsz:4 blgp:4// 0000000054D0: D3AC7000 0002271A D3AD0C64 8D92E928
	v_mfma_scale_f32_16x16x128_f8f6f4 v[88:91], a[44:47], v[108:111], v[88:91], v26, v19 op_sel_hi:[0,0,0] cbsz:4 blgp:4// 0000000054E0: D3AC6800 0002271A D3AD0C58 8D62D92C
	buffer_load_dwordx4 a[12:15], v39, s[24:27], 0 offen       // 0000000054F0: E05C1000 80860C27
	v_mfma_scale_f32_16x16x128_f8f6f4 v[104:107], a[44:47], v[116:119], v[104:107], v26, v19 op_sel_hi:[0,0,0] cbsz:4 blgp:4// 0000000054F8: D3AC7800 0002271A D3AD0C68 8DA2E92C
	s_waitcnt vmcnt(8)                                         // 000000005508: BF8C0F78
	v_mfma_scale_f32_16x16x128_f8f6f4 v[76:79], a[48:51], v[112:115], v[76:79], v25, v19 op_sel_hi:[0,0,0] cbsz:4 blgp:4// 00000000550C: D3AC6000 18022719 D3AD0C4C 8D32E130
	buffer_load_dwordx4 a[16:19], v36, s[24:27], 0 offen offset:1024// 00000000551C: E05C1400 80861024
	v_mfma_scale_f32_16x16x128_f8f6f4 v[92:95], a[48:51], v[120:123], v[92:95], v25, v19 op_sel_hi:[0,0,0] cbsz:4 blgp:4// 000000005524: D3AC7000 18022719 D3AD0C5C 8D72F130
	ds_read_b128 v[124:127], v6 offset:4224                    // 000000005534: D9FE1080 7C000006
	ds_read_b128 v[128:131], v6 offset:4288                    // 00000000553C: D9FE10C0 80000006
	v_mfma_scale_f32_16x16x128_f8f6f4 v[80:83], a[52:55], v[112:115], v[80:83], v25, v19 op_sel_hi:[0,0,0] cbsz:4 blgp:4// 000000005544: D3AC6800 18022719 D3AD0C50 8D42E134
	buffer_load_dwordx4 a[20:23], v37, s[24:27], 0 offen offset:1024// 000000005554: E05C1400 80861425
	v_mfma_scale_f32_16x16x128_f8f6f4 v[96:99], a[52:55], v[120:123], v[96:99], v25, v19 op_sel_hi:[0,0,0] cbsz:4 blgp:4// 00000000555C: D3AC7800 18022719 D3AD0C60 8D82F134
	ds_read_b128 v[132:135], v6 offset:4736                    // 00000000556C: D9FE1280 84000006
	ds_read_b128 v[136:139], v6 offset:4800                    // 000000005574: D9FE12C0 88000006
	s_waitcnt vmcnt(8)                                         // 00000000557C: BF8C0F78
	v_mfma_scale_f32_16x16x128_f8f6f4 v[84:87], a[56:59], v[112:115], v[84:87], v26, v19 op_sel_hi:[0,0,0] cbsz:4 blgp:4// 000000005580: D3AC6000 1802271A D3AD0C54 8D52E138
	buffer_load_dwordx4 a[24:27], v38, s[24:27], 0 offen offset:1024// 000000005590: E05C1400 80861826
	v_mfma_scale_f32_16x16x128_f8f6f4 v[100:103], a[56:59], v[120:123], v[100:103], v26, v19 op_sel_hi:[0,0,0] cbsz:4 blgp:4// 000000005598: D3AC7000 1802271A D3AD0C64 8D92F138
	v_mfma_scale_f32_16x16x128_f8f6f4 v[88:91], a[60:63], v[112:115], v[88:91], v26, v19 op_sel_hi:[0,0,0] cbsz:4 blgp:4// 0000000055A8: D3AC6800 1802271A D3AD0C58 8D62E13C
	buffer_load_dwordx4 a[28:31], v39, s[24:27], 0 offen offset:1024// 0000000055B8: E05C1400 80861C27
	v_mfma_scale_f32_16x16x128_f8f6f4 v[104:107], a[60:63], v[120:123], v[104:107], v26, v19 op_sel_hi:[0,0,0] cbsz:4 blgp:4// 0000000055C0: D3AC7800 1802271A D3AD0C68 8DA2F13C
	s_add_u32 s60, 0x200, s80                                  // 0000000055D0: 803C50FF 00000200
	s_cmp_lt_u32 s60, s81                                      // 0000000055D8: BF0A513C
	s_cselect_b32 s57, s57, 0                                  // 0000000055DC: 85398039
	s_cselect_b32 s3, s3, 0                                    // 0000000055E0: 85038003
	s_add_u32 s60, 0x200, s80                                  // 0000000055E4: 803C50FF 00000200
	s_cmp_lt_u32 s60, s81                                      // 0000000055EC: BF0A513C
	s_cselect_b32 s58, s58, 0                                  // 0000000055F0: 853A803A
	s_add_u32 s20, s57, s20                                    // 0000000055F4: 80141439
	s_addc_u32 s21, 0, s21                                     // 0000000055F8: 82151580
	s_add_u32 s28, s3, s28                                     // 0000000055FC: 801C1C03
	s_addc_u32 s29, 0, s29                                     // 000000005600: 821D1D80
	s_add_u32 s24, s58, s24                                    // 000000005604: 8018183A
	s_addc_u32 s25, 0, s25                                     // 000000005608: 82191980
	s_add_u32 s92, s90, s92                                    // 00000000560C: 805C5C5A
	s_addc_u32 s93, 0, s93                                     // 000000005610: 825D5D80
	s_addk_i32 s80, 0x100                                      // 000000005614: B7500100
	s_cmp_lt_i32 s80, s81                                      // 000000005618: BF045150
	s_cbranch_scc0 label_0AE3                                  // 00000000561C: BF8400DB
	s_waitcnt vmcnt(6) lgkmcnt(0)                              // 000000005620: BF8C0076
	s_barrier                                                  // 000000005624: BF8A0000
	v_mfma_scale_f32_16x16x128_f8f6f4 v[44:47], a[0:3], v[124:127], v[44:47], v23, v20 op_sel_hi:[0,0,0] cbsz:4 blgp:4// 000000005628: D3AC6000 00022917 D3AD0C2C 8CB2F900
	buffer_load_dwordx4 a[32:35], v36, s[92:95], 0 offen       // 000000005638: E05C1000 80972024
	buffer_load_dwordx4 v35, s[20:23], 0 offen lds             // 000000005640: E05D1000 80050023
	s_add_u32 m0, 0, s51                                       // 000000005648: 807C3380
	v_mfma_scale_f32_16x16x128_f8f6f4 v[60:63], a[0:3], v[132:135], v[60:63], v23, v20 op_sel_hi:[0,0,0] cbsz:4 blgp:4// 00000000564C: D3AC7000 00022917 D3AD0C3C 8CF30900
	v_mfma_scale_f32_16x16x128_f8f6f4 v[48:51], a[4:7], v[124:127], v[48:51], v23, v20 op_sel_hi:[0,0,0] cbsz:4 blgp:4// 00000000565C: D3AC6800 00022917 D3AD0C30 8CC2F904
	buffer_load_dwordx4 a[36:39], v37, s[92:95], 0 offen       // 00000000566C: E05C1000 80972425
	buffer_load_dword v19, v12, s[28:31], 0 offen              // 000000005674: E0501000 8007130C
	buffer_load_dword v27, v17, s[32:35], 0 offen              // 00000000567C: E0501000 80081B11
	buffer_load_dword v28, v18, s[32:35], 0 offen              // 000000005684: E0501000 80081C12
	v_mfma_scale_f32_16x16x128_f8f6f4 v[64:67], a[4:7], v[132:135], v[64:67], v23, v20 op_sel_hi:[0,0,0] cbsz:4 blgp:4// 00000000568C: D3AC7800 00022917 D3AD0C40 8D030904
	s_waitcnt vmcnt(10)                                        // 00000000569C: BF8C0F7A
	v_mfma_scale_f32_16x16x128_f8f6f4 v[52:55], a[8:11], v[124:127], v[52:55], v24, v20 op_sel_hi:[0,0,0] cbsz:4 blgp:4// 0000000056A0: D3AC6000 00022918 D3AD0C34 8CD2F908
	buffer_load_dwordx4 a[40:43], v38, s[92:95], 0 offen       // 0000000056B0: E05C1000 80972826
	v_mfma_scale_f32_16x16x128_f8f6f4 v[68:71], a[8:11], v[132:135], v[68:71], v24, v20 op_sel_hi:[0,0,0] cbsz:4 blgp:4// 0000000056B8: D3AC7000 00022918 D3AD0C44 8D130908
	v_mfma_scale_f32_16x16x128_f8f6f4 v[56:59], a[12:15], v[124:127], v[56:59], v24, v20 op_sel_hi:[0,0,0] cbsz:4 blgp:4// 0000000056C8: D3AC6800 00022918 D3AD0C38 8CE2F90C
	buffer_load_dwordx4 a[44:47], v39, s[92:95], 0 offen       // 0000000056D8: E05C1000 80972C27
	v_mfma_scale_f32_16x16x128_f8f6f4 v[72:75], a[12:15], v[132:135], v[72:75], v24, v20 op_sel_hi:[0,0,0] cbsz:4 blgp:4// 0000000056E0: D3AC7800 00022918 D3AD0C48 8D23090C
	s_nop 0                                                    // 0000000056F0: BF800000
	s_waitcnt vmcnt(10)                                        // 0000000056F4: BF8C0F7A
	v_mfma_scale_f32_16x16x128_f8f6f4 v[44:47], a[16:19], v[128:131], v[44:47], v23, v20 op_sel_hi:[0,0,0] cbsz:4 blgp:4// 0000000056F8: D3AC6000 18022917 D3AD0C2C 8CB30110
	buffer_load_dwordx4 a[48:51], v36, s[92:95], 0 offen offset:1024// 000000005708: E05C1400 80973024
	v_mfma_scale_f32_16x16x128_f8f6f4 v[60:63], a[16:19], v[136:139], v[60:63], v23, v20 op_sel_hi:[0,0,0] cbsz:4 blgp:4// 000000005710: D3AC7000 18022917 D3AD0C3C 8CF31110
	v_mfma_scale_f32_16x16x128_f8f6f4 v[48:51], a[20:23], v[128:131], v[48:51], v23, v20 op_sel_hi:[0,0,0] cbsz:4 blgp:4// 000000005720: D3AC6800 18022917 D3AD0C30 8CC30114
	buffer_load_dwordx4 a[52:55], v37, s[92:95], 0 offen offset:1024// 000000005730: E05C1400 80973425
	v_mfma_scale_f32_16x16x128_f8f6f4 v[64:67], a[20:23], v[136:139], v[64:67], v23, v20 op_sel_hi:[0,0,0] cbsz:4 blgp:4// 000000005738: D3AC7800 18022917 D3AD0C40 8D031114
	s_waitcnt vmcnt(10)                                        // 000000005748: BF8C0F7A
	v_mfma_scale_f32_16x16x128_f8f6f4 v[52:55], a[24:27], v[128:131], v[52:55], v24, v20 op_sel_hi:[0,0,0] cbsz:4 blgp:4// 00000000574C: D3AC6000 18022918 D3AD0C34 8CD30118
	buffer_load_dwordx4 a[56:59], v38, s[92:95], 0 offen offset:1024// 00000000575C: E05C1400 80973826
	v_mfma_scale_f32_16x16x128_f8f6f4 v[68:71], a[24:27], v[136:139], v[68:71], v24, v20 op_sel_hi:[0,0,0] cbsz:4 blgp:4// 000000005764: D3AC7000 18022918 D3AD0C44 8D131118
	v_mfma_scale_f32_16x16x128_f8f6f4 v[56:59], a[28:31], v[128:131], v[56:59], v24, v20 op_sel_hi:[0,0,0] cbsz:4 blgp:4// 000000005774: D3AC6800 18022918 D3AD0C38 8CE3011C
	buffer_load_dwordx4 a[60:63], v39, s[92:95], 0 offen offset:1024// 000000005784: E05C1400 80973C27
	v_mfma_scale_f32_16x16x128_f8f6f4 v[72:75], a[28:31], v[136:139], v[72:75], v24, v20 op_sel_hi:[0,0,0] cbsz:4 blgp:4// 00000000578C: D3AC7800 18022918 D3AD0C48 8D23111C
	s_add_u32 s60, 0x100, s80                                  // 00000000579C: 803C50FF 00000100
	s_cmp_lt_u32 s60, s81                                      // 0000000057A4: BF0A513C
	s_cselect_b32 s4, s4, 0                                    // 0000000057A8: 85048004
	s_add_u32 s32, s4, s32                                     // 0000000057AC: 80202004
	s_addc_u32 s33, 0, s33                                     // 0000000057B0: 82212180
	s_waitcnt vmcnt(6)                                         // 0000000057B4: BF8C0F76
	s_barrier                                                  // 0000000057B8: BF8A0000
	v_mfma_scale_f32_16x16x128_f8f6f4 v[76:79], a[32:35], v[124:127], v[76:79], v27, v20 op_sel_hi:[0,0,0] cbsz:4 blgp:4// 0000000057BC: D3AC6000 0002291B D3AD0C4C 8D32F920
	buffer_load_dwordx4 a[0:3], v36, s[24:27], 0 offen         // 0000000057CC: E05C1000 80860024
	buffer_load_dword v21, v15, s[32:35], 0 offen              // 0000000057D4: E0501000 8008150F
	buffer_load_dword v22, v16, s[32:35], 0 offen              // 0000000057DC: E0501000 80081610
	v_mfma_scale_f32_16x16x128_f8f6f4 v[92:95], a[32:35], v[132:135], v[92:95], v27, v20 op_sel_hi:[0,0,0] cbsz:4 blgp:4// 0000000057E4: D3AC7000 0002291B D3AD0C5C 8D730920
	v_mfma_scale_f32_16x16x128_f8f6f4 v[80:83], a[36:39], v[124:127], v[80:83], v27, v20 op_sel_hi:[0,0,0] cbsz:4 blgp:4// 0000000057F4: D3AC6800 0002291B D3AD0C50 8D42F924
	buffer_load_dwordx4 a[4:7], v37, s[24:27], 0 offen         // 000000005804: E05C1000 80860425
	v_mfma_scale_f32_16x16x128_f8f6f4 v[96:99], a[36:39], v[132:135], v[96:99], v27, v20 op_sel_hi:[0,0,0] cbsz:4 blgp:4// 00000000580C: D3AC7800 0002291B D3AD0C60 8D830924
	s_waitcnt vmcnt(8)                                         // 00000000581C: BF8C0F78
	v_mfma_scale_f32_16x16x128_f8f6f4 v[84:87], a[40:43], v[124:127], v[84:87], v28, v20 op_sel_hi:[0,0,0] cbsz:4 blgp:4// 000000005820: D3AC6000 0002291C D3AD0C54 8D52F928
	buffer_load_dwordx4 a[8:11], v38, s[24:27], 0 offen        // 000000005830: E05C1000 80860826
	v_mfma_scale_f32_16x16x128_f8f6f4 v[100:103], a[40:43], v[132:135], v[100:103], v28, v20 op_sel_hi:[0,0,0] cbsz:4 blgp:4// 000000005838: D3AC7000 0002291C D3AD0C64 8D930928
	v_mfma_scale_f32_16x16x128_f8f6f4 v[88:91], a[44:47], v[124:127], v[88:91], v28, v20 op_sel_hi:[0,0,0] cbsz:4 blgp:4// 000000005848: D3AC6800 0002291C D3AD0C58 8D62F92C
	buffer_load_dwordx4 a[12:15], v39, s[24:27], 0 offen       // 000000005858: E05C1000 80860C27
	v_mfma_scale_f32_16x16x128_f8f6f4 v[104:107], a[44:47], v[132:135], v[104:107], v28, v20 op_sel_hi:[0,0,0] cbsz:4 blgp:4// 000000005860: D3AC7800 0002291C D3AD0C68 8DA3092C
	s_waitcnt vmcnt(8)                                         // 000000005870: BF8C0F78
	v_mfma_scale_f32_16x16x128_f8f6f4 v[76:79], a[48:51], v[128:131], v[76:79], v27, v20 op_sel_hi:[0,0,0] cbsz:4 blgp:4// 000000005874: D3AC6000 1802291B D3AD0C4C 8D330130
	buffer_load_dwordx4 a[16:19], v36, s[24:27], 0 offen offset:1024// 000000005884: E05C1400 80861024
	v_mfma_scale_f32_16x16x128_f8f6f4 v[92:95], a[48:51], v[136:139], v[92:95], v27, v20 op_sel_hi:[0,0,0] cbsz:4 blgp:4// 00000000588C: D3AC7000 1802291B D3AD0C5C 8D731130
	ds_read_b128 v[108:111], v6                                // 00000000589C: D9FE0000 6C000006
	ds_read_b128 v[112:115], v6 offset:64                      // 0000000058A4: D9FE0040 70000006
	v_mfma_scale_f32_16x16x128_f8f6f4 v[80:83], a[52:55], v[128:131], v[80:83], v27, v20 op_sel_hi:[0,0,0] cbsz:4 blgp:4// 0000000058AC: D3AC6800 1802291B D3AD0C50 8D430134
	buffer_load_dwordx4 a[20:23], v37, s[24:27], 0 offen offset:1024// 0000000058BC: E05C1400 80861425
	v_mfma_scale_f32_16x16x128_f8f6f4 v[96:99], a[52:55], v[136:139], v[96:99], v27, v20 op_sel_hi:[0,0,0] cbsz:4 blgp:4// 0000000058C4: D3AC7800 1802291B D3AD0C60 8D831134
	ds_read_b128 v[116:119], v6 offset:512                     // 0000000058D4: D9FE0200 74000006
	ds_read_b128 v[120:123], v6 offset:576                     // 0000000058DC: D9FE0240 78000006
	s_waitcnt vmcnt(8)                                         // 0000000058E4: BF8C0F78
	v_mfma_scale_f32_16x16x128_f8f6f4 v[84:87], a[56:59], v[128:131], v[84:87], v28, v20 op_sel_hi:[0,0,0] cbsz:4 blgp:4// 0000000058E8: D3AC6000 1802291C D3AD0C54 8D530138
	buffer_load_dwordx4 a[24:27], v38, s[24:27], 0 offen offset:1024// 0000000058F8: E05C1400 80861826
	v_mfma_scale_f32_16x16x128_f8f6f4 v[100:103], a[56:59], v[136:139], v[100:103], v28, v20 op_sel_hi:[0,0,0] cbsz:4 blgp:4// 000000005900: D3AC7000 1802291C D3AD0C64 8D931138
	v_mfma_scale_f32_16x16x128_f8f6f4 v[88:91], a[60:63], v[128:131], v[88:91], v28, v20 op_sel_hi:[0,0,0] cbsz:4 blgp:4// 000000005910: D3AC6800 1802291C D3AD0C58 8D63013C
	buffer_load_dwordx4 a[28:31], v39, s[24:27], 0 offen offset:1024// 000000005920: E05C1400 80861C27
	v_mfma_scale_f32_16x16x128_f8f6f4 v[104:107], a[60:63], v[136:139], v[104:107], v28, v20 op_sel_hi:[0,0,0] cbsz:4 blgp:4// 000000005928: D3AC7800 1802291C D3AD0C68 8DA3113C
	s_add_u32 s60, 0x200, s80                                  // 000000005938: 803C50FF 00000200
	s_cmp_lt_u32 s60, s81                                      // 000000005940: BF0A513C
	s_cselect_b32 s57, s57, 0                                  // 000000005944: 85398039
	s_cselect_b32 s3, s3, 0                                    // 000000005948: 85038003
	s_add_u32 s60, 0x200, s80                                  // 00000000594C: 803C50FF 00000200
	s_cmp_lt_u32 s60, s81                                      // 000000005954: BF0A513C
	s_cselect_b32 s58, s58, 0                                  // 000000005958: 853A803A
	s_add_u32 s20, s57, s20                                    // 00000000595C: 80141439
	s_addc_u32 s21, 0, s21                                     // 000000005960: 82151580
	s_add_u32 s28, s3, s28                                     // 000000005964: 801C1C03
	s_addc_u32 s29, 0, s29                                     // 000000005968: 821D1D80
	s_add_u32 s24, s58, s24                                    // 00000000596C: 8018183A
	s_addc_u32 s25, 0, s25                                     // 000000005970: 82191980
	s_add_u32 s92, s90, s92                                    // 000000005974: 805C5C5A
	s_addc_u32 s93, 0, s93                                     // 000000005978: 825D5D80
	s_addk_i32 s80, 0x100                                      // 00000000597C: B7500100
	s_cmp_lt_i32 s80, s81                                      // 000000005980: BF045150
	s_cbranch_scc0 label_0AE3                                  // 000000005984: BF840001
	s_branch label_092E                                        // 000000005988: BF82FE4B

000000000000598c <label_0AE3>:
	s_mov_b32 s36, -1                                          // 00000000598C: BEA400C1
	s_mov_b32 s37, -1                                          // 000000005990: BEA500C1
	s_mov_b64 s[60:61], 0                                      // 000000005994: BEBC0180
	s_cmp_lt_u32 s82, s66                                      // 000000005998: BF0A4252
	s_cselect_b64 s[20:21], s[36:37], s[60:61]                 // 00000000599C: 85943C24
	s_cmp_lt_u32 s83, s66                                      // 0000000059A0: BF0A4253
	s_cselect_b64 s[22:23], s[36:37], s[60:61]                 // 0000000059A4: 85963C24
	s_cmp_lt_u32 s84, s66                                      // 0000000059A8: BF0A4254
	s_cselect_b64 s[24:25], s[36:37], s[60:61]                 // 0000000059AC: 85983C24
	s_cmp_lt_u32 s85, s66                                      // 0000000059B0: BF0A4255
	s_cselect_b64 s[26:27], s[36:37], s[60:61]                 // 0000000059B4: 859A3C24
	s_cmp_lt_u32 s86, s66                                      // 0000000059B8: BF0A4256
	s_cselect_b64 s[28:29], s[36:37], s[60:61]                 // 0000000059BC: 859C3C24
	s_cmp_lt_u32 s87, s66                                      // 0000000059C0: BF0A4257
	s_cselect_b64 s[30:31], s[36:37], s[60:61]                 // 0000000059C4: 859E3C24
	s_cmp_lt_u32 s88, s66                                      // 0000000059C8: BF0A4258
	s_cselect_b64 s[32:33], s[36:37], s[60:61]                 // 0000000059CC: 85A03C24
	s_cmp_lt_u32 s89, s66                                      // 0000000059D0: BF0A4259
	s_cselect_b64 s[34:35], s[36:37], s[60:61]                 // 0000000059D4: 85A23C24
	v_mov_b32_e32 v1, 0xbfcc4231                               // 0000000059D8: 7E0202FF BFCC4231
	s_waitcnt vmcnt(6)                                         // 0000000059E0: BF8C0F76
	buffer_load_dwordx4 a[0:3], v40, s[12:15], 0 offen         // 0000000059E4: E05C1000 80830028
	v_mul_f32_e64 v2, -v44, s6                                 // 0000000059EC: D1050002 20000D2C
	v_mul_f32_e64 v3, -v45, s6                                 // 0000000059F4: D1050003 20000D2D
	v_mul_f32_e64 v4, -v46, s6                                 // 0000000059FC: D1050004 20000D2E
	v_mul_f32_e64 v5, -v47, s6                                 // 000000005A04: D1050005 20000D2F
	v_exp_f32_e32 v2, v2                                       // 000000005A0C: 7E044102
	v_exp_f32_e32 v3, v3                                       // 000000005A10: 7E064103
	v_exp_f32_e32 v4, v4                                       // 000000005A14: 7E084104
	v_exp_f32_e32 v5, v5                                       // 000000005A18: 7E0A4105
	buffer_load_dwordx4 a[4:7], v41, s[12:15], 0 offen         // 000000005A1C: E05C1000 80830429
	v_add_f32_e64 v2, v2, 1.0                                  // 000000005A24: D1010002 0001E502
	v_add_f32_e64 v3, v3, 1.0                                  // 000000005A2C: D1010003 0001E503
	v_add_f32_e64 v4, v4, 1.0                                  // 000000005A34: D1010004 0001E504
	v_add_f32_e64 v5, v5, 1.0                                  // 000000005A3C: D1010005 0001E505
	v_rcp_f32_e32 v2, v2                                       // 000000005A44: 7E044502
	v_rcp_f32_e32 v3, v3                                       // 000000005A48: 7E064503
	v_rcp_f32_e32 v4, v4                                       // 000000005A4C: 7E084504
	v_rcp_f32_e32 v5, v5                                       // 000000005A50: 7E0A4505
	v_mul_f32_e32 v44, v44, v2                                 // 000000005A54: 0A58052C
	v_mul_f32_e32 v45, v45, v3                                 // 000000005A58: 0A5A072D
	v_mul_f32_e32 v46, v46, v4                                 // 000000005A5C: 0A5C092E
	v_mul_f32_e32 v47, v47, v5                                 // 000000005A60: 0A5E0B2F
	v_mul_f32_e32 v44, v44, v76                                // 000000005A64: 0A58992C
	v_mul_f32_e32 v45, v45, v77                                // 000000005A68: 0A5A9B2D
	v_mul_f32_e32 v46, v46, v78                                // 000000005A6C: 0A5C9D2E
	v_mul_f32_e32 v47, v47, v79                                // 000000005A70: 0A5E9F2F
	s_waitcnt vmcnt(6)                                         // 000000005A74: BF8C0F76
	buffer_load_dwordx4 a[8:11], v42, s[12:15], 0 offen        // 000000005A78: E05C1000 8083082A
	v_mul_f32_e64 v2, -v48, s6                                 // 000000005A80: D1050002 20000D30
	v_mul_f32_e64 v3, -v49, s6                                 // 000000005A88: D1050003 20000D31
	v_mul_f32_e64 v4, -v50, s6                                 // 000000005A90: D1050004 20000D32
	v_mul_f32_e64 v5, -v51, s6                                 // 000000005A98: D1050005 20000D33
	v_exp_f32_e32 v2, v2                                       // 000000005AA0: 7E044102
	v_exp_f32_e32 v3, v3                                       // 000000005AA4: 7E064103
	v_exp_f32_e32 v4, v4                                       // 000000005AA8: 7E084104
	v_exp_f32_e32 v5, v5                                       // 000000005AAC: 7E0A4105
	buffer_load_dwordx4 a[12:15], v43, s[12:15], 0 offen       // 000000005AB0: E05C1000 80830C2B
	v_add_f32_e64 v2, v2, 1.0                                  // 000000005AB8: D1010002 0001E502
	v_add_f32_e64 v3, v3, 1.0                                  // 000000005AC0: D1010003 0001E503
	v_add_f32_e64 v4, v4, 1.0                                  // 000000005AC8: D1010004 0001E504
	v_add_f32_e64 v5, v5, 1.0                                  // 000000005AD0: D1010005 0001E505
	v_rcp_f32_e32 v2, v2                                       // 000000005AD8: 7E044502
	v_rcp_f32_e32 v3, v3                                       // 000000005ADC: 7E064503
	v_rcp_f32_e32 v4, v4                                       // 000000005AE0: 7E084504
	v_rcp_f32_e32 v5, v5                                       // 000000005AE4: 7E0A4505
	v_mul_f32_e32 v48, v48, v2                                 // 000000005AE8: 0A600530
	v_mul_f32_e32 v49, v49, v3                                 // 000000005AEC: 0A620731
	v_mul_f32_e32 v50, v50, v4                                 // 000000005AF0: 0A640932
	v_mul_f32_e32 v51, v51, v5                                 // 000000005AF4: 0A660B33
	v_mul_f32_e32 v48, v48, v80                                // 000000005AF8: 0A60A130
	v_mul_f32_e32 v49, v49, v81                                // 000000005AFC: 0A62A331
	v_mul_f32_e32 v50, v50, v82                                // 000000005B00: 0A64A532
	v_mul_f32_e32 v51, v51, v83                                // 000000005B04: 0A66A733
	s_waitcnt vmcnt(6)                                         // 000000005B08: BF8C0F76
	buffer_load_dwordx4 a[16:19], v40, s[12:15], 0 offen offset:1024// 000000005B0C: E05C1400 80831028
	v_mul_f32_e64 v2, -v52, s6                                 // 000000005B14: D1050002 20000D34
	v_mul_f32_e64 v3, -v53, s6                                 // 000000005B1C: D1050003 20000D35
	v_mul_f32_e64 v4, -v54, s6                                 // 000000005B24: D1050004 20000D36
	v_mul_f32_e64 v5, -v55, s6                                 // 000000005B2C: D1050005 20000D37
	v_exp_f32_e32 v2, v2                                       // 000000005B34: 7E044102
	v_exp_f32_e32 v3, v3                                       // 000000005B38: 7E064103
	v_exp_f32_e32 v4, v4                                       // 000000005B3C: 7E084104
	v_exp_f32_e32 v5, v5                                       // 000000005B40: 7E0A4105
	buffer_load_dwordx4 a[20:23], v41, s[12:15], 0 offen offset:1024// 000000005B44: E05C1400 80831429
	v_add_f32_e64 v2, v2, 1.0                                  // 000000005B4C: D1010002 0001E502
	v_add_f32_e64 v3, v3, 1.0                                  // 000000005B54: D1010003 0001E503
	v_add_f32_e64 v4, v4, 1.0                                  // 000000005B5C: D1010004 0001E504
	v_add_f32_e64 v5, v5, 1.0                                  // 000000005B64: D1010005 0001E505
	v_rcp_f32_e32 v2, v2                                       // 000000005B6C: 7E044502
	v_rcp_f32_e32 v3, v3                                       // 000000005B70: 7E064503
	v_rcp_f32_e32 v4, v4                                       // 000000005B74: 7E084504
	v_rcp_f32_e32 v5, v5                                       // 000000005B78: 7E0A4505
	v_mul_f32_e32 v52, v52, v2                                 // 000000005B7C: 0A680534
	v_mul_f32_e32 v53, v53, v3                                 // 000000005B80: 0A6A0735
	v_mul_f32_e32 v54, v54, v4                                 // 000000005B84: 0A6C0936
	v_mul_f32_e32 v55, v55, v5                                 // 000000005B88: 0A6E0B37
	v_mul_f32_e32 v52, v52, v84                                // 000000005B8C: 0A68A934
	v_mul_f32_e32 v53, v53, v85                                // 000000005B90: 0A6AAB35
	v_mul_f32_e32 v54, v54, v86                                // 000000005B94: 0A6CAD36
	v_mul_f32_e32 v55, v55, v87                                // 000000005B98: 0A6EAF37
	s_waitcnt vmcnt(6)                                         // 000000005B9C: BF8C0F76
	buffer_load_dwordx4 a[24:27], v42, s[12:15], 0 offen offset:1024// 000000005BA0: E05C1400 8083182A
	v_mul_f32_e64 v2, -v56, s6                                 // 000000005BA8: D1050002 20000D38
	v_mul_f32_e64 v3, -v57, s6                                 // 000000005BB0: D1050003 20000D39
	v_mul_f32_e64 v4, -v58, s6                                 // 000000005BB8: D1050004 20000D3A
	v_mul_f32_e64 v5, -v59, s6                                 // 000000005BC0: D1050005 20000D3B
	v_exp_f32_e32 v2, v2                                       // 000000005BC8: 7E044102
	v_exp_f32_e32 v3, v3                                       // 000000005BCC: 7E064103
	v_exp_f32_e32 v4, v4                                       // 000000005BD0: 7E084104
	v_exp_f32_e32 v5, v5                                       // 000000005BD4: 7E0A4105
	buffer_load_dwordx4 a[28:31], v43, s[12:15], 0 offen offset:1024// 000000005BD8: E05C1400 80831C2B
	v_add_f32_e64 v2, v2, 1.0                                  // 000000005BE0: D1010002 0001E502
	v_add_f32_e64 v3, v3, 1.0                                  // 000000005BE8: D1010003 0001E503
	v_add_f32_e64 v4, v4, 1.0                                  // 000000005BF0: D1010004 0001E504
	v_add_f32_e64 v5, v5, 1.0                                  // 000000005BF8: D1010005 0001E505
	v_rcp_f32_e32 v2, v2                                       // 000000005C00: 7E044502
	v_rcp_f32_e32 v3, v3                                       // 000000005C04: 7E064503
	v_rcp_f32_e32 v4, v4                                       // 000000005C08: 7E084504
	v_rcp_f32_e32 v5, v5                                       // 000000005C0C: 7E0A4505
	v_mul_f32_e32 v56, v56, v2                                 // 000000005C10: 0A700538
	v_mul_f32_e32 v57, v57, v3                                 // 000000005C14: 0A720739
	v_mul_f32_e32 v58, v58, v4                                 // 000000005C18: 0A74093A
	v_mul_f32_e32 v59, v59, v5                                 // 000000005C1C: 0A760B3B
	v_mul_f32_e32 v56, v56, v88                                // 000000005C20: 0A70B138
	v_mul_f32_e32 v57, v57, v89                                // 000000005C24: 0A72B339
	v_mul_f32_e32 v58, v58, v90                                // 000000005C28: 0A74B53A
	v_mul_f32_e32 v59, v59, v91                                // 000000005C2C: 0A76B73B
	s_waitcnt vmcnt(6)                                         // 000000005C30: BF8C0F76
	v_mul_f32_e64 v2, -v60, s6                                 // 000000005C34: D1050002 20000D3C
	v_mul_f32_e64 v3, -v61, s6                                 // 000000005C3C: D1050003 20000D3D
	v_mul_f32_e64 v4, -v62, s6                                 // 000000005C44: D1050004 20000D3E
	v_mul_f32_e64 v5, -v63, s6                                 // 000000005C4C: D1050005 20000D3F
	v_exp_f32_e32 v2, v2                                       // 000000005C54: 7E044102
	v_exp_f32_e32 v3, v3                                       // 000000005C58: 7E064103
	v_exp_f32_e32 v4, v4                                       // 000000005C5C: 7E084104
	v_exp_f32_e32 v5, v5                                       // 000000005C60: 7E0A4105
	v_add_f32_e64 v2, v2, 1.0                                  // 000000005C64: D1010002 0001E502
	v_add_f32_e64 v3, v3, 1.0                                  // 000000005C6C: D1010003 0001E503
	v_add_f32_e64 v4, v4, 1.0                                  // 000000005C74: D1010004 0001E504
	v_add_f32_e64 v5, v5, 1.0                                  // 000000005C7C: D1010005 0001E505
	v_rcp_f32_e32 v2, v2                                       // 000000005C84: 7E044502
	v_rcp_f32_e32 v3, v3                                       // 000000005C88: 7E064503
	v_rcp_f32_e32 v4, v4                                       // 000000005C8C: 7E084504
	v_rcp_f32_e32 v5, v5                                       // 000000005C90: 7E0A4505
	v_mul_f32_e32 v60, v60, v2                                 // 000000005C94: 0A78053C
	v_mul_f32_e32 v61, v61, v3                                 // 000000005C98: 0A7A073D
	v_mul_f32_e32 v62, v62, v4                                 // 000000005C9C: 0A7C093E
	v_mul_f32_e32 v63, v63, v5                                 // 000000005CA0: 0A7E0B3F
	v_mul_f32_e32 v60, v60, v92                                // 000000005CA4: 0A78B93C
	v_mul_f32_e32 v61, v61, v93                                // 000000005CA8: 0A7ABB3D
	v_mul_f32_e32 v62, v62, v94                                // 000000005CAC: 0A7CBD3E
	v_mul_f32_e32 v63, v63, v95                                // 000000005CB0: 0A7EBF3F
	s_waitcnt vmcnt(6)                                         // 000000005CB4: BF8C0F76
	v_mul_f32_e64 v2, -v64, s6                                 // 000000005CB8: D1050002 20000D40
	v_mul_f32_e64 v3, -v65, s6                                 // 000000005CC0: D1050003 20000D41
	v_mul_f32_e64 v4, -v66, s6                                 // 000000005CC8: D1050004 20000D42
	v_mul_f32_e64 v5, -v67, s6                                 // 000000005CD0: D1050005 20000D43
	v_exp_f32_e32 v2, v2                                       // 000000005CD8: 7E044102
	v_exp_f32_e32 v3, v3                                       // 000000005CDC: 7E064103
	v_exp_f32_e32 v4, v4                                       // 000000005CE0: 7E084104
	v_exp_f32_e32 v5, v5                                       // 000000005CE4: 7E0A4105
	v_add_f32_e64 v2, v2, 1.0                                  // 000000005CE8: D1010002 0001E502
	v_add_f32_e64 v3, v3, 1.0                                  // 000000005CF0: D1010003 0001E503
	v_add_f32_e64 v4, v4, 1.0                                  // 000000005CF8: D1010004 0001E504
	v_add_f32_e64 v5, v5, 1.0                                  // 000000005D00: D1010005 0001E505
	v_rcp_f32_e32 v2, v2                                       // 000000005D08: 7E044502
	v_rcp_f32_e32 v3, v3                                       // 000000005D0C: 7E064503
	v_rcp_f32_e32 v4, v4                                       // 000000005D10: 7E084504
	v_rcp_f32_e32 v5, v5                                       // 000000005D14: 7E0A4505
	v_mul_f32_e32 v64, v64, v2                                 // 000000005D18: 0A800540
	v_mul_f32_e32 v65, v65, v3                                 // 000000005D1C: 0A820741
	v_mul_f32_e32 v66, v66, v4                                 // 000000005D20: 0A840942
	v_mul_f32_e32 v67, v67, v5                                 // 000000005D24: 0A860B43
	v_mul_f32_e32 v64, v64, v96                                // 000000005D28: 0A80C140
	v_mul_f32_e32 v65, v65, v97                                // 000000005D2C: 0A82C341
	v_mul_f32_e32 v66, v66, v98                                // 000000005D30: 0A84C542
	v_mul_f32_e32 v67, v67, v99                                // 000000005D34: 0A86C743
	s_waitcnt vmcnt(6)                                         // 000000005D38: BF8C0F76
	v_mul_f32_e64 v2, -v68, s6                                 // 000000005D3C: D1050002 20000D44
	v_mul_f32_e64 v3, -v69, s6                                 // 000000005D44: D1050003 20000D45
	v_mul_f32_e64 v4, -v70, s6                                 // 000000005D4C: D1050004 20000D46
	v_mul_f32_e64 v5, -v71, s6                                 // 000000005D54: D1050005 20000D47
	v_exp_f32_e32 v2, v2                                       // 000000005D5C: 7E044102
	v_exp_f32_e32 v3, v3                                       // 000000005D60: 7E064103
	v_exp_f32_e32 v4, v4                                       // 000000005D64: 7E084104
	v_exp_f32_e32 v5, v5                                       // 000000005D68: 7E0A4105
	v_add_f32_e64 v2, v2, 1.0                                  // 000000005D6C: D1010002 0001E502
	v_add_f32_e64 v3, v3, 1.0                                  // 000000005D74: D1010003 0001E503
	v_add_f32_e64 v4, v4, 1.0                                  // 000000005D7C: D1010004 0001E504
	v_add_f32_e64 v5, v5, 1.0                                  // 000000005D84: D1010005 0001E505
	v_rcp_f32_e32 v2, v2                                       // 000000005D8C: 7E044502
	v_rcp_f32_e32 v3, v3                                       // 000000005D90: 7E064503
	v_rcp_f32_e32 v4, v4                                       // 000000005D94: 7E084504
	v_rcp_f32_e32 v5, v5                                       // 000000005D98: 7E0A4505
	v_mul_f32_e32 v68, v68, v2                                 // 000000005D9C: 0A880544
	v_mul_f32_e32 v69, v69, v3                                 // 000000005DA0: 0A8A0745
	v_mul_f32_e32 v70, v70, v4                                 // 000000005DA4: 0A8C0946
	v_mul_f32_e32 v71, v71, v5                                 // 000000005DA8: 0A8E0B47
	v_mul_f32_e32 v68, v68, v100                               // 000000005DAC: 0A88C944
	v_mul_f32_e32 v69, v69, v101                               // 000000005DB0: 0A8ACB45
	v_mul_f32_e32 v70, v70, v102                               // 000000005DB4: 0A8CCD46
	v_mul_f32_e32 v71, v71, v103                               // 000000005DB8: 0A8ECF47
	s_waitcnt vmcnt(6)                                         // 000000005DBC: BF8C0F76
	v_mul_f32_e64 v2, -v72, s6                                 // 000000005DC0: D1050002 20000D48
	v_mul_f32_e64 v3, -v73, s6                                 // 000000005DC8: D1050003 20000D49
	v_mul_f32_e64 v4, -v74, s6                                 // 000000005DD0: D1050004 20000D4A
	v_mul_f32_e64 v5, -v75, s6                                 // 000000005DD8: D1050005 20000D4B
	v_exp_f32_e32 v2, v2                                       // 000000005DE0: 7E044102
	v_exp_f32_e32 v3, v3                                       // 000000005DE4: 7E064103
	v_exp_f32_e32 v4, v4                                       // 000000005DE8: 7E084104
	v_exp_f32_e32 v5, v5                                       // 000000005DEC: 7E0A4105
	v_add_f32_e64 v2, v2, 1.0                                  // 000000005DF0: D1010002 0001E502
	v_add_f32_e64 v3, v3, 1.0                                  // 000000005DF8: D1010003 0001E503
	v_add_f32_e64 v4, v4, 1.0                                  // 000000005E00: D1010004 0001E504
	v_add_f32_e64 v5, v5, 1.0                                  // 000000005E08: D1010005 0001E505
	v_rcp_f32_e32 v2, v2                                       // 000000005E10: 7E044502
	v_rcp_f32_e32 v3, v3                                       // 000000005E14: 7E064503
	v_rcp_f32_e32 v4, v4                                       // 000000005E18: 7E084504
	v_rcp_f32_e32 v5, v5                                       // 000000005E1C: 7E0A4505
	v_mul_f32_e32 v72, v72, v2                                 // 000000005E20: 0A900548
	v_mul_f32_e32 v73, v73, v3                                 // 000000005E24: 0A920749
	v_mul_f32_e32 v74, v74, v4                                 // 000000005E28: 0A94094A
	v_mul_f32_e32 v75, v75, v5                                 // 000000005E2C: 0A960B4B
	v_mul_f32_e32 v72, v72, v104                               // 000000005E30: 0A90D148
	v_mul_f32_e32 v73, v73, v105                               // 000000005E34: 0A92D349
	v_mul_f32_e32 v74, v74, v106                               // 000000005E38: 0A94D54A
	v_mul_f32_e32 v75, v75, v107                               // 000000005E3C: 0A96D74B
	v_lshlrev_b32_e32 v2, 2, v0                                // 000000005E40: 24040082
	s_mul_i32 s60, s82, s71                                    // 000000005E44: 923C4752
	v_add_u32_e64 v92, v2, s60                                 // 000000005E48: D134005C 00007902
	v_mov_b32_e32 v93, 0                                       // 000000005E50: 7EBA0280
	s_mul_i32 s60, s83, s71                                    // 000000005E54: 923C4753
	v_add_u32_e64 v94, v2, s60                                 // 000000005E58: D134005E 00007902
	v_mov_b32_e32 v95, 0                                       // 000000005E60: 7EBE0280
	s_mul_i32 s60, s84, s71                                    // 000000005E64: 923C4754
	v_add_u32_e64 v96, v2, s60                                 // 000000005E68: D1340060 00007902
	v_mov_b32_e32 v97, 0                                       // 000000005E70: 7EC20280
	s_mul_i32 s60, s85, s71                                    // 000000005E74: 923C4755
	v_add_u32_e64 v98, v2, s60                                 // 000000005E78: D1340062 00007902
	v_mov_b32_e32 v99, 0                                       // 000000005E80: 7EC60280
	s_mul_i32 s60, s86, s71                                    // 000000005E84: 923C4756
	v_add_u32_e64 v100, v2, s60                                // 000000005E88: D1340064 00007902
	v_mov_b32_e32 v101, 0                                      // 000000005E90: 7ECA0280
	s_mul_i32 s60, s87, s71                                    // 000000005E94: 923C4757
	v_add_u32_e64 v102, v2, s60                                // 000000005E98: D1340066 00007902
	v_mov_b32_e32 v103, 0                                      // 000000005EA0: 7ECE0280
	s_mul_i32 s60, s88, s71                                    // 000000005EA4: 923C4758
	v_add_u32_e64 v104, v2, s60                                // 000000005EA8: D1340068 00007902
	v_mov_b32_e32 v105, 0                                      // 000000005EB0: 7ED20280
	s_mul_i32 s60, s89, s71                                    // 000000005EB4: 923C4759
	v_add_u32_e64 v106, v2, s60                                // 000000005EB8: D134006A 00007902
	v_mov_b32_e32 v107, 0                                      // 000000005EC0: 7ED60280
	buffer_load_dword v21, v10, s[16:19], 0 offen              // 000000005EC4: E0501000 8004150A
	buffer_load_dword v22, v11, s[16:19], 0 offen              // 000000005ECC: E0501000 8004160B
	v_mov_b32_e32 v31, 0x358637bd                              // 000000005ED4: 7E3E02FF 358637BD
	v_mov_b32_e32 v32, 0x358637bd                              // 000000005EDC: 7E4002FF 358637BD
	v_max3_f32 v31, |v44|, |v45|, v31                          // 000000005EE4: D1D3031F 047E5B2C
	v_max3_f32 v31, |v46|, |v47|, v31                          // 000000005EEC: D1D3031F 047E5F2E
	v_max3_f32 v31, |v48|, |v49|, v31                          // 000000005EF4: D1D3031F 047E6330
	v_max3_f32 v31, |v50|, |v51|, v31                          // 000000005EFC: D1D3031F 047E6732
	v_max3_f32 v32, |v60|, |v61|, v32                          // 000000005F04: D1D30320 04827B3C
	v_max3_f32 v32, |v62|, |v63|, v32                          // 000000005F0C: D1D30320 04827F3E
	v_max3_f32 v32, |v64|, |v65|, v32                          // 000000005F14: D1D30320 04828340
	v_max3_f32 v32, |v66|, |v67|, v32                          // 000000005F1C: D1D30320 04828742
	v_mov_b32_e32 v2, v31                                      // 000000005F24: 7E04031F
	s_nop 1                                                    // 000000005F28: BF800001
	v_permlane32_swap_b32_e32 v2, v31                          // 000000005F2C: 7E04B51F
	v_max_f32_e32 v31, v2, v31                                 // 000000005F30: 163E3F02
	v_mov_b32_e32 v2, v31                                      // 000000005F34: 7E04031F
	s_nop 1                                                    // 000000005F38: BF800001
	v_permlane16_swap_b32_e32 v2, v31                          // 000000005F3C: 7E04B31F
	v_max_f32_e32 v31, v2, v31                                 // 000000005F40: 163E3F02
	v_mov_b32_e32 v2, v32                                      // 000000005F44: 7E040320
	s_nop 1                                                    // 000000005F48: BF800001
	v_permlane32_swap_b32_e32 v2, v32                          // 000000005F4C: 7E04B520
	v_max_f32_e32 v32, v2, v32                                 // 000000005F50: 16404102
	v_mov_b32_e32 v2, v32                                      // 000000005F54: 7E040320
	s_nop 1                                                    // 000000005F58: BF800001
	v_permlane16_swap_b32_e32 v2, v32                          // 000000005F5C: 7E04B320
	v_max_f32_e32 v32, v2, v32                                 // 000000005F60: 16404102
	v_mov_b32_e32 v2, 0x3e800000                               // 000000005F64: 7E0402FF 3E800000
	v_mul_f32_e32 v31, v2, v31                                 // 000000005F6C: 0A3E3F02
	v_mul_f32_e32 v32, v2, v32                                 // 000000005F70: 0A404102
	v_mov_b32_e32 v1, 0x7fff0000                               // 000000005F74: 7E0202FF 7FFF0000
	v_mov_b32_e32 v5, 0x7fbfffff                               // 000000005F7C: 7E0A02FF 7FBFFFFF
	v_bfe_u32 v2, v31, 22, 1                                   // 000000005F84: D1C80002 02052D1F
	v_and_b32_e32 v3, v31, v5                                  // 000000005F8C: 26060B1F
	v_cmp_eq_u32_e64 s[60:61], v3, 0                           // 000000005F90: D0CA003C 00010103
	v_cndmask_b32_e64 v4, 1, 0, s[60:61]                       // 000000005F98: D1000004 00F10081
	v_and_b32_e32 v4, v4, v2                                   // 000000005FA0: 26080504
	v_bfe_u32 v5, v31, 23, 8                                   // 000000005FA4: D1C80005 02212F1F
	v_add_u32_e32 v5, v5, v4                                   // 000000005FAC: 680A0905
	v_cmp_u_f32_e64 s[60:61], v31, v31                         // 000000005FB0: D048003C 00023F1F
	v_lshlrev_b32_e32 v31, 23, v5                              // 000000005FB8: 243E0A97
	v_cndmask_b32_e64 v31, v31, v1, s[60:61]                   // 000000005FBC: D100001F 00F2031F
	v_mov_b32_e32 v5, 0x7fbfffff                               // 000000005FC4: 7E0A02FF 7FBFFFFF
	v_bfe_u32 v2, v32, 22, 1                                   // 000000005FCC: D1C80002 02052D20
	v_and_b32_e32 v3, v32, v5                                  // 000000005FD4: 26060B20
	v_cmp_eq_u32_e64 s[60:61], v3, 0                           // 000000005FD8: D0CA003C 00010103
	v_cndmask_b32_e64 v4, 1, 0, s[60:61]                       // 000000005FE0: D1000004 00F10081
	v_and_b32_e32 v4, v4, v2                                   // 000000005FE8: 26080504
	v_bfe_u32 v5, v32, 23, 8                                   // 000000005FEC: D1C80005 02212F20
	v_add_u32_e32 v5, v5, v4                                   // 000000005FF4: 680A0905
	v_cmp_u_f32_e64 s[60:61], v32, v32                         // 000000005FF8: D048003C 00024120
	v_lshlrev_b32_e32 v32, 23, v5                              // 000000006000: 24400A97
	v_cndmask_b32_e64 v32, v32, v1, s[60:61]                   // 000000006004: D1000020 00F20320
	s_mov_b32 s60, 0xffff                                      // 00000000600C: BEBC00FF 0000FFFF
	v_cvt_scalef32_pk_fp4_f32 v44, v44, v45, v31               // 000000006014: D23D002C 047E5B2C
	v_cvt_scalef32_pk_fp4_f32 v44, v46, v47, v31 op_sel:[0,0,1,0]// 00000000601C: D23D202C 047E5F2E
	v_cvt_scalef32_pk_fp4_f32 v48, v48, v49, v31               // 000000006024: D23D0030 047E6330
	v_cvt_scalef32_pk_fp4_f32 v48, v50, v51, v31 op_sel:[0,0,1,0]// 00000000602C: D23D2030 047E6732
	s_nop 1                                                    // 000000006034: BF800001
	v_permlane16_swap_b32_e32 v44, v48                         // 000000006038: 7E58B330
	s_nop 1                                                    // 00000000603C: BF800001
	v_and_b32_e64 v44, v44, s60                                // 000000006040: D113002C 0000792C
	v_lshlrev_b32_e32 v48, 16, v48                             // 000000006048: 24606090
	v_or_b32_e32 v44, v44, v48                                 // 00000000604C: 2858612C
	v_mov_b32_e32 v48, v44                                     // 000000006050: 7E60032C
	s_nop 1                                                    // 000000006054: BF800001
	v_permlane32_swap_b32_e32 v44, v48                         // 000000006058: 7E58B530
	s_nop 1                                                    // 00000000605C: BF800001
	v_permlane16_swap_b32_e32 v44, v48                         // 000000006060: 7E58B330
	s_nop 1                                                    // 000000006064: BF800001
	v_permlane32_swap_b32_e32 v44, v48                         // 000000006068: 7E58B530
	s_nop 1                                                    // 00000000606C: BF800001
	v_cvt_scalef32_pk_fp4_f32 v60, v60, v61, v32               // 000000006070: D23D003C 04827B3C
	v_cvt_scalef32_pk_fp4_f32 v60, v62, v63, v32 op_sel:[0,0,1,0]// 000000006078: D23D203C 04827F3E
	v_cvt_scalef32_pk_fp4_f32 v64, v64, v65, v32               // 000000006080: D23D0040 04828340
	v_cvt_scalef32_pk_fp4_f32 v64, v66, v67, v32 op_sel:[0,0,1,0]// 000000006088: D23D2040 04828742
	s_nop 1                                                    // 000000006090: BF800001
	v_permlane16_swap_b32_e32 v60, v64                         // 000000006094: 7E78B340
	s_nop 1                                                    // 000000006098: BF800001
	v_and_b32_e64 v60, v60, s60                                // 00000000609C: D113003C 0000793C
	v_lshlrev_b32_e32 v64, 16, v64                             // 0000000060A4: 24808090
	v_or_b32_e32 v60, v60, v64                                 // 0000000060A8: 2878813C
	v_mov_b32_e32 v64, v60                                     // 0000000060AC: 7E80033C
	s_nop 1                                                    // 0000000060B0: BF800001
	v_permlane32_swap_b32_e32 v60, v64                         // 0000000060B4: 7E78B540
	s_nop 1                                                    // 0000000060B8: BF800001
	v_permlane16_swap_b32_e32 v60, v64                         // 0000000060BC: 7E78B340
	s_nop 1                                                    // 0000000060C0: BF800001
	v_permlane32_swap_b32_e32 v60, v64                         // 0000000060C4: 7E78B540
	s_nop 1                                                    // 0000000060C8: BF800001
	v_mov_b32_e32 v33, 0x358637bd                              // 0000000060CC: 7E4202FF 358637BD
	v_mov_b32_e32 v34, 0x358637bd                              // 0000000060D4: 7E4402FF 358637BD
	v_max3_f32 v33, |v52|, |v53|, v33                          // 0000000060DC: D1D30321 04866B34
	v_max3_f32 v33, |v54|, |v55|, v33                          // 0000000060E4: D1D30321 04866F36
	v_max3_f32 v33, |v56|, |v57|, v33                          // 0000000060EC: D1D30321 04867338
	v_max3_f32 v33, |v58|, |v59|, v33                          // 0000000060F4: D1D30321 0486773A
	v_max3_f32 v34, |v68|, |v69|, v34                          // 0000000060FC: D1D30322 048A8B44
	v_max3_f32 v34, |v70|, |v71|, v34                          // 000000006104: D1D30322 048A8F46
	v_max3_f32 v34, |v72|, |v73|, v34                          // 00000000610C: D1D30322 048A9348
	v_max3_f32 v34, |v74|, |v75|, v34                          // 000000006114: D1D30322 048A974A
	v_mov_b32_e32 v2, v33                                      // 00000000611C: 7E040321
	s_nop 1                                                    // 000000006120: BF800001
	v_permlane32_swap_b32_e32 v2, v33                          // 000000006124: 7E04B521
	v_max_f32_e32 v33, v2, v33                                 // 000000006128: 16424302
	v_mov_b32_e32 v2, v33                                      // 00000000612C: 7E040321
	s_nop 1                                                    // 000000006130: BF800001
	v_permlane16_swap_b32_e32 v2, v33                          // 000000006134: 7E04B321
	v_max_f32_e32 v33, v2, v33                                 // 000000006138: 16424302
	v_mov_b32_e32 v2, v34                                      // 00000000613C: 7E040322
	s_nop 1                                                    // 000000006140: BF800001
	v_permlane32_swap_b32_e32 v2, v34                          // 000000006144: 7E04B522
	v_max_f32_e32 v34, v2, v34                                 // 000000006148: 16444502
	v_mov_b32_e32 v2, v34                                      // 00000000614C: 7E040322
	s_nop 1                                                    // 000000006150: BF800001
	v_permlane16_swap_b32_e32 v2, v34                          // 000000006154: 7E04B322
	v_max_f32_e32 v34, v2, v34                                 // 000000006158: 16444502
	v_mov_b32_e32 v2, 0x3e800000                               // 00000000615C: 7E0402FF 3E800000
	v_mul_f32_e32 v33, v2, v33                                 // 000000006164: 0A424302
	v_mul_f32_e32 v34, v2, v34                                 // 000000006168: 0A444502
	v_mov_b32_e32 v1, 0x7fff0000                               // 00000000616C: 7E0202FF 7FFF0000
	v_mov_b32_e32 v5, 0x7fbfffff                               // 000000006174: 7E0A02FF 7FBFFFFF
	v_bfe_u32 v2, v33, 22, 1                                   // 00000000617C: D1C80002 02052D21
	v_and_b32_e32 v3, v33, v5                                  // 000000006184: 26060B21
	v_cmp_eq_u32_e64 s[60:61], v3, 0                           // 000000006188: D0CA003C 00010103
	v_cndmask_b32_e64 v4, 1, 0, s[60:61]                       // 000000006190: D1000004 00F10081
	v_and_b32_e32 v4, v4, v2                                   // 000000006198: 26080504
	v_bfe_u32 v5, v33, 23, 8                                   // 00000000619C: D1C80005 02212F21
	v_add_u32_e32 v5, v5, v4                                   // 0000000061A4: 680A0905
	v_cmp_u_f32_e64 s[60:61], v33, v33                         // 0000000061A8: D048003C 00024321
	v_lshlrev_b32_e32 v33, 23, v5                              // 0000000061B0: 24420A97
	v_cndmask_b32_e64 v33, v33, v1, s[60:61]                   // 0000000061B4: D1000021 00F20321
	v_mov_b32_e32 v5, 0x7fbfffff                               // 0000000061BC: 7E0A02FF 7FBFFFFF
	v_bfe_u32 v2, v34, 22, 1                                   // 0000000061C4: D1C80002 02052D22
	v_and_b32_e32 v3, v34, v5                                  // 0000000061CC: 26060B22
	v_cmp_eq_u32_e64 s[60:61], v3, 0                           // 0000000061D0: D0CA003C 00010103
	v_cndmask_b32_e64 v4, 1, 0, s[60:61]                       // 0000000061D8: D1000004 00F10081
	v_and_b32_e32 v4, v4, v2                                   // 0000000061E0: 26080504
	v_bfe_u32 v5, v34, 23, 8                                   // 0000000061E4: D1C80005 02212F22
	v_add_u32_e32 v5, v5, v4                                   // 0000000061EC: 680A0905
	v_cmp_u_f32_e64 s[60:61], v34, v34                         // 0000000061F0: D048003C 00024522
	v_lshlrev_b32_e32 v34, 23, v5                              // 0000000061F8: 24440A97
	v_cndmask_b32_e64 v34, v34, v1, s[60:61]                   // 0000000061FC: D1000022 00F20322
	s_mov_b32 s60, 0xffff                                      // 000000006204: BEBC00FF 0000FFFF
	v_cvt_scalef32_pk_fp4_f32 v52, v52, v53, v33               // 00000000620C: D23D0034 04866B34
	v_cvt_scalef32_pk_fp4_f32 v52, v54, v55, v33 op_sel:[0,0,1,0]// 000000006214: D23D2034 04866F36
	v_cvt_scalef32_pk_fp4_f32 v56, v56, v57, v33               // 00000000621C: D23D0038 04867338
	v_cvt_scalef32_pk_fp4_f32 v56, v58, v59, v33 op_sel:[0,0,1,0]// 000000006224: D23D2038 0486773A
	s_nop 1                                                    // 00000000622C: BF800001
	v_permlane16_swap_b32_e32 v52, v56                         // 000000006230: 7E68B338
	s_nop 1                                                    // 000000006234: BF800001
	v_and_b32_e64 v52, v52, s60                                // 000000006238: D1130034 00007934
	v_lshlrev_b32_e32 v56, 16, v56                             // 000000006240: 24707090
	v_or_b32_e32 v52, v52, v56                                 // 000000006244: 28687134
	v_mov_b32_e32 v56, v52                                     // 000000006248: 7E700334
	s_nop 1                                                    // 00000000624C: BF800001
	v_permlane32_swap_b32_e32 v52, v56                         // 000000006250: 7E68B538
	s_nop 1                                                    // 000000006254: BF800001
	v_permlane16_swap_b32_e32 v52, v56                         // 000000006258: 7E68B338
	s_nop 1                                                    // 00000000625C: BF800001
	v_permlane32_swap_b32_e32 v52, v56                         // 000000006260: 7E68B538
	s_nop 1                                                    // 000000006264: BF800001
	v_cvt_scalef32_pk_fp4_f32 v68, v68, v69, v34               // 000000006268: D23D0044 048A8B44
	v_cvt_scalef32_pk_fp4_f32 v68, v70, v71, v34 op_sel:[0,0,1,0]// 000000006270: D23D2044 048A8F46
	v_cvt_scalef32_pk_fp4_f32 v72, v72, v73, v34               // 000000006278: D23D0048 048A9348
	v_cvt_scalef32_pk_fp4_f32 v72, v74, v75, v34 op_sel:[0,0,1,0]// 000000006280: D23D2048 048A974A
	s_nop 1                                                    // 000000006288: BF800001
	v_permlane16_swap_b32_e32 v68, v72                         // 00000000628C: 7E88B348
	s_nop 1                                                    // 000000006290: BF800001
	v_and_b32_e64 v68, v68, s60                                // 000000006294: D1130044 00007944
	v_lshlrev_b32_e32 v72, 16, v72                             // 00000000629C: 24909090
	v_or_b32_e32 v68, v68, v72                                 // 0000000062A0: 28889144
	v_mov_b32_e32 v72, v68                                     // 0000000062A4: 7E900344
	s_nop 1                                                    // 0000000062A8: BF800001
	v_permlane32_swap_b32_e32 v68, v72                         // 0000000062AC: 7E88B548
	s_nop 1                                                    // 0000000062B0: BF800001
	v_permlane16_swap_b32_e32 v68, v72                         // 0000000062B4: 7E88B348
	s_nop 1                                                    // 0000000062B8: BF800001
	v_permlane32_swap_b32_e32 v68, v72                         // 0000000062BC: 7E88B548
	s_nop 1                                                    // 0000000062C0: BF800001
	v_lshrrev_b32_e32 v2, 5, v0                                // 0000000062C4: 20040085
	v_lshlrev_b32_e32 v3, 6, v2                                // 0000000062C8: 24060486
	v_and_b32_e32 v2, 31, v0                                   // 0000000062CC: 2604009F
	v_lshrrev_b32_e32 v4, 4, v2                                // 0000000062D0: 20080484
	v_add_u32_e32 v3, v4, v3                                   // 0000000062D4: 68060704
	v_and_b32_e32 v2, 15, v0                                   // 0000000062D8: 2604008F
	v_lshlrev_b32_e32 v2, 1, v2                                // 0000000062DC: 24040481
	v_add_u32_e32 v3, v2, v3                                   // 0000000062E0: 68060702
	v_lshlrev_b32_e32 v2, 2, v3                                // 0000000062E4: 24040682
	s_mov_b32 s60, 0                                           // 0000000062E8: BEBC0080
	s_lshr_b32 s61, s7, 1                                      // 0000000062EC: 8F3D8107
	s_mul_i32 s61, s61, 0x200                                  // 0000000062F0: 923DFF3D 00000200
	s_add_u32 s60, s61, s60                                    // 0000000062F8: 803C3C3D
	s_and_b32 s61, s7, 1                                       // 0000000062FC: 863D8107
	s_mul_i32 s61, s61, 0x80                                   // 000000006300: 923DFF3D 00000080
	s_add_u32 s60, s61, s60                                    // 000000006308: 803C3C3D
	v_add_u32_e64 v2, v2, s60                                  // 00000000630C: D1340002 00007902
	ds_write_b32 v2, v44                                       // 000000006314: D81A0000 00002C02
	ds_write_b32 v2, v52 offset:1024                           // 00000000631C: D81A0400 00003402
	ds_write_b32 v2, v60 offset:2048                           // 000000006324: D81A0800 00003C02
	ds_write_b32 v2, v68 offset:3072                           // 00000000632C: D81A0C00 00004402
	s_waitcnt lgkmcnt(0)                                       // 000000006334: BF8CC07F
	s_barrier                                                  // 000000006338: BF8A0000
	v_and_b32_e32 v2, 31, v0                                   // 00000000633C: 2604009F
	v_lshrrev_b32_e32 v2, 4, v2                                // 000000006340: 20040484
	v_lshlrev_b32_e32 v3, 5, v2                                // 000000006344: 24060485
	v_lshrrev_b32_e32 v2, 5, v0                                // 000000006348: 20040085
	v_lshlrev_b32_e32 v2, 7, v2                                // 00000000634C: 24040487
	v_add_u32_e32 v3, v2, v3                                   // 000000006350: 68060702
	v_and_b32_e32 v2, 15, v0                                   // 000000006354: 2604008F
	v_lshlrev_b32_e32 v2, 1, v2                                // 000000006358: 24040481
	v_add_u32_e32 v3, v2, v3                                   // 00000000635C: 68060702
	v_lshlrev_b32_e32 v2, 2, v3                                // 000000006360: 24040682
	ds_read_b64 v[44:45], v2                                   // 000000006364: D8EC0000 2C000002
	ds_read_b64 v[46:47], v2 offset:256                        // 00000000636C: D8EC0100 2E000002
	ds_read_b64 v[48:49], v2 offset:1024                       // 000000006374: D8EC0400 30000002
	ds_read_b64 v[50:51], v2 offset:1280                       // 00000000637C: D8EC0500 32000002
	ds_read_b64 v[52:53], v2 offset:2048                       // 000000006384: D8EC0800 34000002
	ds_read_b64 v[54:55], v2 offset:2304                       // 00000000638C: D8EC0900 36000002
	ds_read_b64 v[56:57], v2 offset:3072                       // 000000006394: D8EC0C00 38000002
	ds_read_b64 v[58:59], v2 offset:3328                       // 00000000639C: D8EC0D00 3A000002
	s_waitcnt lgkmcnt(0)                                       // 0000000063A4: BF8CC07F
	s_barrier                                                  // 0000000063A8: BF8A0000
	v_lshrrev_b32_e32 v2, 5, v0                                // 0000000063AC: 20040085
	v_lshlrev_b32_e32 v3, 6, v2                                // 0000000063B0: 24060486
	v_and_b32_e32 v2, 31, v0                                   // 0000000063B4: 2604009F
	v_lshrrev_b32_e32 v4, 4, v2                                // 0000000063B8: 20080484
	v_add_u32_e32 v3, v4, v3                                   // 0000000063BC: 68060704
	v_and_b32_e32 v2, 15, v0                                   // 0000000063C0: 2604008F
	v_lshlrev_b32_e32 v2, 1, v2                                // 0000000063C4: 24040481
	v_add_u32_e32 v3, v2, v3                                   // 0000000063C8: 68060702
	v_lshlrev_b32_e32 v2, 2, v3                                // 0000000063CC: 24040682
	s_mov_b32 s60, 0                                           // 0000000063D0: BEBC0080
	s_lshr_b32 s61, s7, 1                                      // 0000000063D4: 8F3D8107
	s_mul_i32 s61, s61, 0x200                                  // 0000000063D8: 923DFF3D 00000200
	s_add_u32 s60, s61, s60                                    // 0000000063E0: 803C3C3D
	s_and_b32 s61, s7, 1                                       // 0000000063E4: 863D8107
	s_mul_i32 s61, s61, 0x80                                   // 0000000063E8: 923DFF3D 00000080
	s_add_u32 s60, s61, s60                                    // 0000000063F0: 803C3C3D
	v_add_u32_e64 v2, v2, s60                                  // 0000000063F4: D1340002 00007902
	ds_write_b32 v2, v31                                       // 0000000063FC: D81A0000 00001F02
	ds_write_b32 v2, v33 offset:1024                           // 000000006404: D81A0400 00002102
	ds_write_b32 v2, v32 offset:2048                           // 00000000640C: D81A0800 00002002
	ds_write_b32 v2, v34 offset:3072                           // 000000006414: D81A0C00 00002202
	s_waitcnt lgkmcnt(0)                                       // 00000000641C: BF8CC07F
	s_barrier                                                  // 000000006420: BF8A0000
	v_and_b32_e32 v2, 31, v0                                   // 000000006424: 2604009F
	v_lshrrev_b32_e32 v2, 4, v2                                // 000000006428: 20040484
	v_lshlrev_b32_e32 v3, 5, v2                                // 00000000642C: 24060485
	v_lshrrev_b32_e32 v2, 5, v0                                // 000000006430: 20040085
	v_lshlrev_b32_e32 v2, 7, v2                                // 000000006434: 24040487
	v_add_u32_e32 v3, v2, v3                                   // 000000006438: 68060702
	v_and_b32_e32 v2, 15, v0                                   // 00000000643C: 2604008F
	v_lshlrev_b32_e32 v2, 1, v2                                // 000000006440: 24040481
	v_add_u32_e32 v3, v2, v3                                   // 000000006444: 68060702
	v_lshlrev_b32_e32 v2, 2, v3                                // 000000006448: 24040682
	ds_read_b32 v31, v2                                        // 00000000644C: D86C0000 1F000002
	ds_read_b32 v33, v2 offset:1024                            // 000000006454: D86C0400 21000002
	ds_read_b32 v32, v2 offset:2048                            // 00000000645C: D86C0800 20000002
	ds_read_b32 v34, v2 offset:3072                            // 000000006464: D86C0C00 22000002
	s_waitcnt lgkmcnt(0)                                       // 00000000646C: BF8CC07F
	s_barrier                                                  // 000000006470: BF8A0000
	v_bfe_u32 v31, v31, 23, 8                                  // 000000006474: D1C8001F 02212F1F
	v_bfe_u32 v32, v32, 23, 8                                  // 00000000647C: D1C80020 02212F20
	v_bfe_u32 v33, v33, 23, 8                                  // 000000006484: D1C80021 02212F21
	v_bfe_u32 v34, v34, 23, 8                                  // 00000000648C: D1C80022 02212F22
	v_mov_b32_e32 v2, 0                                        // 000000006494: 7E040280
	v_lshlrev_b32_e32 v31, 0, v31                              // 000000006498: 243E3E80
	v_or_b32_e32 v2, v2, v31                                   // 00000000649C: 28043F02
	v_lshlrev_b32_e32 v32, 8, v32                              // 0000000064A0: 24404088
	v_or_b32_e32 v2, v2, v32                                   // 0000000064A4: 28044102
	v_lshlrev_b32_e32 v33, 16, v33                             // 0000000064A8: 24424290
	v_or_b32_e32 v2, v2, v33                                   // 0000000064AC: 28044302
	v_lshlrev_b32_e32 v34, 24, v34                             // 0000000064B0: 24444498
	v_or_b32_e32 v2, v2, v34                                   // 0000000064B4: 28044502
	v_mov_b32_e32 v31, v2                                      // 0000000064B8: 7E3E0302
	s_add_u32 s12, s56, s12                                    // 0000000064BC: 800C0C38
	s_addc_u32 s13, 0, s13                                     // 0000000064C0: 820D0D80
	s_add_u32 s16, s79, s16                                    // 0000000064C4: 8010104F
	s_addc_u32 s17, 0, s17                                     // 0000000064C8: 82111180
	s_waitcnt lgkmcnt(0)                                       // 0000000064CC: BF8CC07F
	s_barrier                                                  // 0000000064D0: BF8A0000
	v_mov_b32_e32 v108, 0                                      // 0000000064D4: 7ED80280
	v_mov_b32_e32 v140, 0                                      // 0000000064D8: 7F180280
	v_mov_b32_e32 v109, 0                                      // 0000000064DC: 7EDA0280
	v_mov_b32_e32 v141, 0                                      // 0000000064E0: 7F1A0280
	v_mov_b32_e32 v110, 0                                      // 0000000064E4: 7EDC0280
	v_mov_b32_e32 v142, 0                                      // 0000000064E8: 7F1C0280
	v_mov_b32_e32 v111, 0                                      // 0000000064EC: 7EDE0280
	v_mov_b32_e32 v143, 0                                      // 0000000064F0: 7F1E0280
	v_mov_b32_e32 v112, 0                                      // 0000000064F4: 7EE00280
	v_mov_b32_e32 v144, 0                                      // 0000000064F8: 7F200280
	v_mov_b32_e32 v113, 0                                      // 0000000064FC: 7EE20280
	v_mov_b32_e32 v145, 0                                      // 000000006500: 7F220280
	v_mov_b32_e32 v114, 0                                      // 000000006504: 7EE40280
	v_mov_b32_e32 v146, 0                                      // 000000006508: 7F240280
	v_mov_b32_e32 v115, 0                                      // 00000000650C: 7EE60280
	v_mov_b32_e32 v147, 0                                      // 000000006510: 7F260280
	v_mov_b32_e32 v116, 0                                      // 000000006514: 7EE80280
	v_mov_b32_e32 v148, 0                                      // 000000006518: 7F280280
	v_mov_b32_e32 v117, 0                                      // 00000000651C: 7EEA0280
	v_mov_b32_e32 v149, 0                                      // 000000006520: 7F2A0280
	v_mov_b32_e32 v118, 0                                      // 000000006524: 7EEC0280
	v_mov_b32_e32 v150, 0                                      // 000000006528: 7F2C0280
	v_mov_b32_e32 v119, 0                                      // 00000000652C: 7EEE0280
	v_mov_b32_e32 v151, 0                                      // 000000006530: 7F2E0280
	v_mov_b32_e32 v120, 0                                      // 000000006534: 7EF00280
	v_mov_b32_e32 v152, 0                                      // 000000006538: 7F300280
	v_mov_b32_e32 v121, 0                                      // 00000000653C: 7EF20280
	v_mov_b32_e32 v153, 0                                      // 000000006540: 7F320280
	v_mov_b32_e32 v122, 0                                      // 000000006544: 7EF40280
	v_mov_b32_e32 v154, 0                                      // 000000006548: 7F340280
	v_mov_b32_e32 v123, 0                                      // 00000000654C: 7EF60280
	v_mov_b32_e32 v155, 0                                      // 000000006550: 7F360280
	ds_write_b64 v8, v[108:109]                                // 000000006554: D89A0000 00006C08
	ds_write_b64 v8, v[110:111] offset:8704                    // 00000000655C: D89A2200 00006E08
	ds_write_b64 v8, v[112:113] offset:544                     // 000000006564: D89A0220 00007008
	ds_write_b64 v8, v[114:115] offset:9248                    // 00000000656C: D89A2420 00007208
	ds_write_b64 v8, v[116:117] offset:4352                    // 000000006574: D89A1100 00007408
	ds_write_b64 v8, v[118:119] offset:13056                   // 00000000657C: D89A3300 00007608
	ds_write_b64 v8, v[120:121] offset:4896                    // 000000006584: D89A1320 00007808
	ds_write_b64 v8, v[122:123] offset:13600                   // 00000000658C: D89A3520 00007A08
	s_mov_b32 s80, 0                                           // 000000006594: BED00080
	s_waitcnt vmcnt(0) expcnt(0) lgkmcnt(0)                    // 000000006598: BF8C0000

000000000000659c <label_0DE7>:
	s_waitcnt vmcnt(22) lgkmcnt(0)                             // 00000000659C: BF8C4076
	s_barrier                                                  // 0000000065A0: BF8A0000
	v_mfma_scale_f32_16x16x128_f8f6f4 v[108:111], a[0:3], v[44:47], 0, v21, v31 op_sel_hi:[0,0,0] cbsz:4 blgp:4// 0000000065A4: D3AC6000 00023F15 D3AD0C6C 8A025900
	buffer_load_dwordx4 a[32:35], v40, s[12:15], 0 offen       // 0000000065B4: E05C1000 80832028
	v_mfma_scale_f32_16x16x128_f8f6f4 v[112:115], a[0:3], v[52:55], 0, v21, v31 op_sel_hi:[0,0,0] cbsz:4 blgp:4// 0000000065BC: D3AC7000 00023F15 D3AD0C70 8A026900
	ds_read_b32 v76, v9                                        // 0000000065CC: D86C0000 4C000009
	ds_read_b32 v77, v9 offset:4352                            // 0000000065D4: D86C1100 4D000009
	ds_read_b32 v78, v9 offset:8                               // 0000000065DC: D86C0008 4E000009
	ds_read_b32 v79, v9 offset:4360                            // 0000000065E4: D86C1108 4F000009
	v_mfma_scale_f32_16x16x128_f8f6f4 v[116:119], a[4:7], v[44:47], 0, v21, v31 op_sel_hi:[0,0,0] cbsz:4 blgp:4// 0000000065EC: D3AC6800 00023F15 D3AD0C74 8A025904
	buffer_load_dwordx4 a[36:39], v41, s[12:15], 0 offen       // 0000000065FC: E05C1000 80832429
	buffer_load_dword v23, v10, s[16:19], 0 offen              // 000000006604: E0501000 8004170A
	buffer_load_dword v24, v11, s[16:19], 0 offen              // 00000000660C: E0501000 8004180B
	v_mfma_scale_f32_16x16x128_f8f6f4 v[120:123], a[4:7], v[52:55], 0, v21, v31 op_sel_hi:[0,0,0] cbsz:4 blgp:4// 000000006614: D3AC7800 00023F15 D3AD0C78 8A026904
	ds_read_b32 v80, v9 offset:32                              // 000000006624: D86C0020 50000009
	ds_read_b32 v81, v9 offset:4384                            // 00000000662C: D86C1120 51000009
	ds_read_b32 v82, v9 offset:40                              // 000000006634: D86C0028 52000009
	ds_read_b32 v83, v9 offset:4392                            // 00000000663C: D86C1128 53000009
	s_waitcnt vmcnt(24)                                        // 000000006644: BF8C4F78
	v_mfma_scale_f32_16x16x128_f8f6f4 v[124:127], a[8:11], v[44:47], 0, v22, v31 op_sel_hi:[0,0,0] cbsz:4 blgp:4// 000000006648: D3AC6000 00023F16 D3AD0C7C 8A025908
	buffer_load_dwordx4 a[40:43], v42, s[12:15], 0 offen       // 000000006658: E05C1000 8083282A
	v_mfma_scale_f32_16x16x128_f8f6f4 v[128:131], a[8:11], v[52:55], 0, v22, v31 op_sel_hi:[0,0,0] cbsz:4 blgp:4// 000000006660: D3AC7000 00023F16 D3AD0C80 8A026908
	ds_read_b32 v84, v9 offset:8704                            // 000000006670: D86C2200 54000009
	ds_read_b32 v85, v9 offset:13056                           // 000000006678: D86C3300 55000009
	ds_read_b32 v86, v9 offset:8712                            // 000000006680: D86C2208 56000009
	ds_read_b32 v87, v9 offset:13064                           // 000000006688: D86C3308 57000009
	v_mfma_scale_f32_16x16x128_f8f6f4 v[132:135], a[12:15], v[44:47], 0, v22, v31 op_sel_hi:[0,0,0] cbsz:4 blgp:4// 000000006690: D3AC6800 00023F16 D3AD0C84 8A02590C
	buffer_load_dwordx4 a[44:47], v43, s[12:15], 0 offen       // 0000000066A0: E05C1000 80832C2B
	v_mfma_scale_f32_16x16x128_f8f6f4 v[136:139], a[12:15], v[52:55], 0, v22, v31 op_sel_hi:[0,0,0] cbsz:4 blgp:4// 0000000066A8: D3AC7800 00023F16 D3AD0C88 8A02690C
	ds_read_b32 v88, v9 offset:8736                            // 0000000066B8: D86C2220 58000009
	ds_read_b32 v89, v9 offset:13088                           // 0000000066C0: D86C3320 59000009
	ds_read_b32 v90, v9 offset:8744                            // 0000000066C8: D86C2228 5A000009
	ds_read_b32 v91, v9 offset:13096                           // 0000000066D0: D86C3328 5B000009
	s_waitcnt vmcnt(24)                                        // 0000000066D8: BF8C4F78
	v_mfma_scale_f32_16x16x128_f8f6f4 v[108:111], a[16:19], v[48:51], v[108:111], v21, v31 op_sel_hi:[0,0,0] cbsz:4 blgp:4// 0000000066DC: D3AC6000 18023F15 D3AD0C6C 8DB26110
	buffer_load_dwordx4 a[48:51], v40, s[12:15], 0 offen offset:1024// 0000000066EC: E05C1400 80833028
	v_mfma_scale_f32_16x16x128_f8f6f4 v[112:115], a[16:19], v[56:59], v[112:115], v21, v31 op_sel_hi:[0,0,0] cbsz:4 blgp:4// 0000000066F4: D3AC7000 18023F15 D3AD0C70 8DC27110
	ds_write_b64 v8, v[140:141] offset:17408                   // 000000006704: D89A4400 00008C08
	ds_write_b64 v8, v[142:143] offset:26112                   // 00000000670C: D89A6600 00008E08
	v_mfma_scale_f32_16x16x128_f8f6f4 v[116:119], a[20:23], v[48:51], v[116:119], v21, v31 op_sel_hi:[0,0,0] cbsz:4 blgp:4// 000000006714: D3AC6800 18023F15 D3AD0C74 8DD26114
	buffer_load_dwordx4 a[52:55], v41, s[12:15], 0 offen offset:1024// 000000006724: E05C1400 80833429
	v_mfma_scale_f32_16x16x128_f8f6f4 v[120:123], a[20:23], v[56:59], v[120:123], v21, v31 op_sel_hi:[0,0,0] cbsz:4 blgp:4// 00000000672C: D3AC7800 18023F15 D3AD0C78 8DE27114
	ds_write_b64 v8, v[144:145] offset:17952                   // 00000000673C: D89A4620 00009008
	ds_write_b64 v8, v[146:147] offset:26656                   // 000000006744: D89A6820 00009208
	s_waitcnt vmcnt(24)                                        // 00000000674C: BF8C4F78
	v_mfma_scale_f32_16x16x128_f8f6f4 v[124:127], a[24:27], v[48:51], v[124:127], v22, v31 op_sel_hi:[0,0,0] cbsz:4 blgp:4// 000000006750: D3AC6000 18023F16 D3AD0C7C 8DF26118
	buffer_load_dwordx4 a[56:59], v42, s[12:15], 0 offen offset:1024// 000000006760: E05C1400 8083382A
	v_mfma_scale_f32_16x16x128_f8f6f4 v[128:131], a[24:27], v[56:59], v[128:131], v22, v31 op_sel_hi:[0,0,0] cbsz:4 blgp:4// 000000006768: D3AC7000 18023F16 D3AD0C80 8E027118
	ds_write_b64 v8, v[148:149] offset:21760                   // 000000006778: D89A5500 00009408
	ds_write_b64 v8, v[150:151] offset:30464                   // 000000006780: D89A7700 00009608
	v_mfma_scale_f32_16x16x128_f8f6f4 v[132:135], a[28:31], v[48:51], v[132:135], v22, v31 op_sel_hi:[0,0,0] cbsz:4 blgp:4// 000000006788: D3AC6800 18023F16 D3AD0C84 8E12611C
	buffer_load_dwordx4 a[60:63], v43, s[12:15], 0 offen offset:1024// 000000006798: E05C1400 80833C2B
	v_mfma_scale_f32_16x16x128_f8f6f4 v[136:139], a[28:31], v[56:59], v[136:139], v22, v31 op_sel_hi:[0,0,0] cbsz:4 blgp:4// 0000000067A0: D3AC7800 18023F16 D3AD0C88 8E22711C
	ds_write_b64 v8, v[152:153] offset:22304                   // 0000000067B0: D89A5720 00009808
	ds_write_b64 v8, v[154:155] offset:31008                   // 0000000067B8: D89A7920 00009A08
	s_add_u32 s60, 0x200, s80                                  // 0000000067C0: 803C50FF 00000200
	s_cmp_lt_u32 s60, s81                                      // 0000000067C8: BF0A513C
	s_cselect_b32 s56, s56, 0                                  // 0000000067CC: 85388038
	s_cselect_b32 s78, s78, 0                                  // 0000000067D0: 854E804E
	s_cselect_b32 s79, s79, 0                                  // 0000000067D4: 854F804F
	s_add_u32 s12, s56, s12                                    // 0000000067D8: 800C0C38
	s_addc_u32 s13, 0, s13                                     // 0000000067DC: 820D0D80
	s_add_u32 s16, s79, s16                                    // 0000000067E0: 8010104F
	s_addc_u32 s17, 0, s17                                     // 0000000067E4: 82111180
	v_mov_b32_e32 v2, v29                                      // 0000000067E8: 7E04031D
	v_mov_b32_e32 v3, v29                                      // 0000000067EC: 7E06031D
	v_pk_mul_f32 v[108:109], v[2:3], v[108:109]                // 0000000067F0: D3B1406C 1802D902
	v_pk_mul_f32 v[110:111], v[2:3], v[110:111]                // 0000000067F8: D3B1406E 1802DD02
	v_pk_mul_f32 v[116:117], v[2:3], v[116:117]                // 000000006800: D3B14074 1802E902
	v_pk_mul_f32 v[118:119], v[2:3], v[118:119]                // 000000006808: D3B14076 1802ED02
	v_pk_mul_f32 v[124:125], v[2:3], v[124:125]                // 000000006810: D3B1407C 1802F902
	v_pk_mul_f32 v[126:127], v[2:3], v[126:127]                // 000000006818: D3B1407E 1802FD02
	v_pk_mul_f32 v[132:133], v[2:3], v[132:133]                // 000000006820: D3B14084 18030902
	v_pk_mul_f32 v[134:135], v[2:3], v[134:135]                // 000000006828: D3B14086 18030D02
	v_mov_b32_e32 v2, v30                                      // 000000006830: 7E04031E
	v_mov_b32_e32 v3, v30                                      // 000000006834: 7E06031E
	v_pk_mul_f32 v[112:113], v[2:3], v[112:113]                // 000000006838: D3B14070 1802E102
	v_pk_mul_f32 v[114:115], v[2:3], v[114:115]                // 000000006840: D3B14072 1802E502
	v_pk_mul_f32 v[120:121], v[2:3], v[120:121]                // 000000006848: D3B14078 1802F102
	v_pk_mul_f32 v[122:123], v[2:3], v[122:123]                // 000000006850: D3B1407A 1802F502
	v_pk_mul_f32 v[128:129], v[2:3], v[128:129]                // 000000006858: D3B14080 18030102
	v_pk_mul_f32 v[130:131], v[2:3], v[130:131]                // 000000006860: D3B14082 18030502
	v_pk_mul_f32 v[136:137], v[2:3], v[136:137]                // 000000006868: D3B14088 18031102
	v_pk_mul_f32 v[138:139], v[2:3], v[138:139]                // 000000006870: D3B1408A 18031502
	v_cvt_pkrtz_f16_f32 v108, v108, v109                       // 000000006878: D296006C 0002DB6C
	v_cvt_pkrtz_f16_f32 v109, v110, v111                       // 000000006880: D296006D 0002DF6E
	v_cvt_pkrtz_f16_f32 v110, v112, v113                       // 000000006888: D296006E 0002E370
	v_cvt_pkrtz_f16_f32 v111, v114, v115                       // 000000006890: D296006F 0002E772
	v_cvt_pkrtz_f16_f32 v112, v116, v117                       // 000000006898: D2960070 0002EB74
	v_cvt_pkrtz_f16_f32 v113, v118, v119                       // 0000000068A0: D2960071 0002EF76
	v_cvt_pkrtz_f16_f32 v114, v120, v121                       // 0000000068A8: D2960072 0002F378
	v_cvt_pkrtz_f16_f32 v115, v122, v123                       // 0000000068B0: D2960073 0002F77A
	v_cvt_pkrtz_f16_f32 v116, v124, v125                       // 0000000068B8: D2960074 0002FB7C
	v_cvt_pkrtz_f16_f32 v117, v126, v127                       // 0000000068C0: D2960075 0002FF7E
	v_cvt_pkrtz_f16_f32 v118, v128, v129                       // 0000000068C8: D2960076 00030380
	v_cvt_pkrtz_f16_f32 v119, v130, v131                       // 0000000068D0: D2960077 00030782
	v_cvt_pkrtz_f16_f32 v120, v132, v133                       // 0000000068D8: D2960078 00030B84
	v_cvt_pkrtz_f16_f32 v121, v134, v135                       // 0000000068E0: D2960079 00030F86
	v_cvt_pkrtz_f16_f32 v122, v136, v137                       // 0000000068E8: D296007A 00031388
	v_cvt_pkrtz_f16_f32 v123, v138, v139                       // 0000000068F0: D296007B 0003178A
	s_cmp_ge_u32 s80, 0x200                                    // 0000000068F8: BF09FF50 00000200
	s_cselect_b32 s59, 0x200, s59                              // 000000006900: 853B3BFF 00000200
	s_mov_b64 exec, s[20:21]                                   // 000000006908: BEFE0114
	global_atomic_pk_add_f16 v92, v76, s[8:9]                  // 00000000690C: DD388000 00084C5C
	s_mov_b64 exec, s[36:37]                                   // 000000006914: BEFE0124
	s_mov_b64 exec, s[20:21]                                   // 000000006918: BEFE0114
	global_atomic_pk_add_f16 v92, v77, s[8:9] offset:256       // 00000000691C: DD388100 00084D5C
	s_mov_b64 exec, s[36:37]                                   // 000000006924: BEFE0124
	s_mov_b64 exec, s[22:23]                                   // 000000006928: BEFE0116
	global_atomic_pk_add_f16 v94, v78, s[8:9]                  // 00000000692C: DD388000 00084E5E
	s_mov_b64 exec, s[36:37]                                   // 000000006934: BEFE0124
	s_mov_b64 exec, s[22:23]                                   // 000000006938: BEFE0116
	global_atomic_pk_add_f16 v94, v79, s[8:9] offset:256       // 00000000693C: DD388100 00084F5E
	s_mov_b64 exec, s[36:37]                                   // 000000006944: BEFE0124
	s_mov_b64 exec, s[24:25]                                   // 000000006948: BEFE0118
	global_atomic_pk_add_f16 v96, v80, s[8:9]                  // 00000000694C: DD388000 00085060
	s_mov_b64 exec, s[36:37]                                   // 000000006954: BEFE0124
	s_mov_b64 exec, s[24:25]                                   // 000000006958: BEFE0118
	global_atomic_pk_add_f16 v96, v81, s[8:9] offset:256       // 00000000695C: DD388100 00085160
	s_mov_b64 exec, s[36:37]                                   // 000000006964: BEFE0124
	s_mov_b64 exec, s[26:27]                                   // 000000006968: BEFE011A
	global_atomic_pk_add_f16 v98, v82, s[8:9]                  // 00000000696C: DD388000 00085262
	s_mov_b64 exec, s[36:37]                                   // 000000006974: BEFE0124
	s_mov_b64 exec, s[26:27]                                   // 000000006978: BEFE011A
	global_atomic_pk_add_f16 v98, v83, s[8:9] offset:256       // 00000000697C: DD388100 00085362
	s_mov_b64 exec, s[36:37]                                   // 000000006984: BEFE0124
	s_mov_b64 exec, s[28:29]                                   // 000000006988: BEFE011C
	global_atomic_pk_add_f16 v100, v84, s[8:9]                 // 00000000698C: DD388000 00085464
	s_mov_b64 exec, s[36:37]                                   // 000000006994: BEFE0124
	s_mov_b64 exec, s[28:29]                                   // 000000006998: BEFE011C
	global_atomic_pk_add_f16 v100, v85, s[8:9] offset:256      // 00000000699C: DD388100 00085564
	s_mov_b64 exec, s[36:37]                                   // 0000000069A4: BEFE0124
	s_mov_b64 exec, s[30:31]                                   // 0000000069A8: BEFE011E
	global_atomic_pk_add_f16 v102, v86, s[8:9]                 // 0000000069AC: DD388000 00085666
	s_mov_b64 exec, s[36:37]                                   // 0000000069B4: BEFE0124
	s_mov_b64 exec, s[30:31]                                   // 0000000069B8: BEFE011E
	global_atomic_pk_add_f16 v102, v87, s[8:9] offset:256      // 0000000069BC: DD388100 00085766
	s_mov_b64 exec, s[36:37]                                   // 0000000069C4: BEFE0124
	s_mov_b64 exec, s[32:33]                                   // 0000000069C8: BEFE0120
	global_atomic_pk_add_f16 v104, v88, s[8:9]                 // 0000000069CC: DD388000 00085868
	s_mov_b64 exec, s[36:37]                                   // 0000000069D4: BEFE0124
	s_mov_b64 exec, s[32:33]                                   // 0000000069D8: BEFE0120
	global_atomic_pk_add_f16 v104, v89, s[8:9] offset:256      // 0000000069DC: DD388100 00085968
	s_mov_b64 exec, s[36:37]                                   // 0000000069E4: BEFE0124
	s_mov_b64 exec, s[34:35]                                   // 0000000069E8: BEFE0122
	global_atomic_pk_add_f16 v106, v90, s[8:9]                 // 0000000069EC: DD388000 00085A6A
	s_mov_b64 exec, s[36:37]                                   // 0000000069F4: BEFE0124
	s_mov_b64 exec, s[34:35]                                   // 0000000069F8: BEFE0122
	global_atomic_pk_add_f16 v106, v91, s[8:9] offset:256      // 0000000069FC: DD388100 00085B6A
	s_mov_b64 exec, s[36:37]                                   // 000000006A04: BEFE0124
	s_add_u32 s8, s59, s8                                      // 000000006A08: 8008083B
	s_addc_u32 s9, 0, s9                                       // 000000006A0C: 82090980
	s_addk_i32 s80, 0x100                                      // 000000006A10: B7500100
	s_cmp_lt_i32 s80, s81                                      // 000000006A14: BF045150
	s_cbranch_scc0 label_092B                                  // 000000006A18: BF84FA24
	s_waitcnt vmcnt(22) lgkmcnt(0)                             // 000000006A1C: BF8C4076
	s_barrier                                                  // 000000006A20: BF8A0000
	v_mfma_scale_f32_16x16x128_f8f6f4 v[140:143], a[32:35], v[44:47], 0, v23, v31 op_sel_hi:[0,0,0] cbsz:4 blgp:4// 000000006A24: D3AC6000 00023F17 D3AD0C8C 8A025920
	buffer_load_dwordx4 a[0:3], v40, s[12:15], 0 offen         // 000000006A34: E05C1000 80830028
	v_mfma_scale_f32_16x16x128_f8f6f4 v[144:147], a[32:35], v[52:55], 0, v23, v31 op_sel_hi:[0,0,0] cbsz:4 blgp:4// 000000006A3C: D3AC7000 00023F17 D3AD0C90 8A026920
	ds_read_b32 v76, v9 offset:17408                           // 000000006A4C: D86C4400 4C000009
	ds_read_b32 v77, v9 offset:21760                           // 000000006A54: D86C5500 4D000009
	ds_read_b32 v78, v9 offset:17416                           // 000000006A5C: D86C4408 4E000009
	ds_read_b32 v79, v9 offset:21768                           // 000000006A64: D86C5508 4F000009
	v_mfma_scale_f32_16x16x128_f8f6f4 v[148:151], a[36:39], v[44:47], 0, v23, v31 op_sel_hi:[0,0,0] cbsz:4 blgp:4// 000000006A6C: D3AC6800 00023F17 D3AD0C94 8A025924
	buffer_load_dwordx4 a[4:7], v41, s[12:15], 0 offen         // 000000006A7C: E05C1000 80830429
	buffer_load_dword v21, v10, s[16:19], 0 offen              // 000000006A84: E0501000 8004150A
	buffer_load_dword v22, v11, s[16:19], 0 offen              // 000000006A8C: E0501000 8004160B
	v_mfma_scale_f32_16x16x128_f8f6f4 v[152:155], a[36:39], v[52:55], 0, v23, v31 op_sel_hi:[0,0,0] cbsz:4 blgp:4// 000000006A94: D3AC7800 00023F17 D3AD0C98 8A026924
	ds_read_b32 v80, v9 offset:17440                           // 000000006AA4: D86C4420 50000009
	ds_read_b32 v81, v9 offset:21792                           // 000000006AAC: D86C5520 51000009
	ds_read_b32 v82, v9 offset:17448                           // 000000006AB4: D86C4428 52000009
	ds_read_b32 v83, v9 offset:21800                           // 000000006ABC: D86C5528 53000009
	s_waitcnt vmcnt(24)                                        // 000000006AC4: BF8C4F78
	v_mfma_scale_f32_16x16x128_f8f6f4 v[156:159], a[40:43], v[44:47], 0, v24, v31 op_sel_hi:[0,0,0] cbsz:4 blgp:4// 000000006AC8: D3AC6000 00023F18 D3AD0C9C 8A025928
	buffer_load_dwordx4 a[8:11], v42, s[12:15], 0 offen        // 000000006AD8: E05C1000 8083082A
	v_mfma_scale_f32_16x16x128_f8f6f4 v[160:163], a[40:43], v[52:55], 0, v24, v31 op_sel_hi:[0,0,0] cbsz:4 blgp:4// 000000006AE0: D3AC7000 00023F18 D3AD0CA0 8A026928
	ds_read_b32 v84, v9 offset:26112                           // 000000006AF0: D86C6600 54000009
	ds_read_b32 v85, v9 offset:30464                           // 000000006AF8: D86C7700 55000009
	ds_read_b32 v86, v9 offset:26120                           // 000000006B00: D86C6608 56000009
	ds_read_b32 v87, v9 offset:30472                           // 000000006B08: D86C7708 57000009
	v_mfma_scale_f32_16x16x128_f8f6f4 v[164:167], a[44:47], v[44:47], 0, v24, v31 op_sel_hi:[0,0,0] cbsz:4 blgp:4// 000000006B10: D3AC6800 00023F18 D3AD0CA4 8A02592C
	buffer_load_dwordx4 a[12:15], v43, s[12:15], 0 offen       // 000000006B20: E05C1000 80830C2B
	v_mfma_scale_f32_16x16x128_f8f6f4 v[168:171], a[44:47], v[52:55], 0, v24, v31 op_sel_hi:[0,0,0] cbsz:4 blgp:4// 000000006B28: D3AC7800 00023F18 D3AD0CA8 8A02692C
	ds_read_b32 v88, v9 offset:26144                           // 000000006B38: D86C6620 58000009
	ds_read_b32 v89, v9 offset:30496                           // 000000006B40: D86C7720 59000009
	ds_read_b32 v90, v9 offset:26152                           // 000000006B48: D86C6628 5A000009
	ds_read_b32 v91, v9 offset:30504                           // 000000006B50: D86C7728 5B000009
	s_waitcnt vmcnt(24)                                        // 000000006B58: BF8C4F78
	v_mfma_scale_f32_16x16x128_f8f6f4 v[140:143], a[48:51], v[48:51], v[140:143], v23, v31 op_sel_hi:[0,0,0] cbsz:4 blgp:4// 000000006B5C: D3AC6000 18023F17 D3AD0C8C 8E326130
	buffer_load_dwordx4 a[16:19], v40, s[12:15], 0 offen offset:1024// 000000006B6C: E05C1400 80831028
	v_mfma_scale_f32_16x16x128_f8f6f4 v[144:147], a[48:51], v[56:59], v[144:147], v23, v31 op_sel_hi:[0,0,0] cbsz:4 blgp:4// 000000006B74: D3AC7000 18023F17 D3AD0C90 8E427130
	ds_write_b64 v8, v[108:109]                                // 000000006B84: D89A0000 00006C08
	ds_write_b64 v8, v[110:111] offset:8704                    // 000000006B8C: D89A2200 00006E08
	v_mfma_scale_f32_16x16x128_f8f6f4 v[148:151], a[52:55], v[48:51], v[148:151], v23, v31 op_sel_hi:[0,0,0] cbsz:4 blgp:4// 000000006B94: D3AC6800 18023F17 D3AD0C94 8E526134
	buffer_load_dwordx4 a[20:23], v41, s[12:15], 0 offen offset:1024// 000000006BA4: E05C1400 80831429
	v_mfma_scale_f32_16x16x128_f8f6f4 v[152:155], a[52:55], v[56:59], v[152:155], v23, v31 op_sel_hi:[0,0,0] cbsz:4 blgp:4// 000000006BAC: D3AC7800 18023F17 D3AD0C98 8E627134
	ds_write_b64 v8, v[112:113] offset:544                     // 000000006BBC: D89A0220 00007008
	ds_write_b64 v8, v[114:115] offset:9248                    // 000000006BC4: D89A2420 00007208
	s_waitcnt vmcnt(24)                                        // 000000006BCC: BF8C4F78
	v_mfma_scale_f32_16x16x128_f8f6f4 v[156:159], a[56:59], v[48:51], v[156:159], v24, v31 op_sel_hi:[0,0,0] cbsz:4 blgp:4// 000000006BD0: D3AC6000 18023F18 D3AD0C9C 8E726138
	buffer_load_dwordx4 a[24:27], v42, s[12:15], 0 offen offset:1024// 000000006BE0: E05C1400 8083182A
	v_mfma_scale_f32_16x16x128_f8f6f4 v[160:163], a[56:59], v[56:59], v[160:163], v24, v31 op_sel_hi:[0,0,0] cbsz:4 blgp:4// 000000006BE8: D3AC7000 18023F18 D3AD0CA0 8E827138
	ds_write_b64 v8, v[116:117] offset:4352                    // 000000006BF8: D89A1100 00007408
	ds_write_b64 v8, v[118:119] offset:13056                   // 000000006C00: D89A3300 00007608
	v_mfma_scale_f32_16x16x128_f8f6f4 v[164:167], a[60:63], v[48:51], v[164:167], v24, v31 op_sel_hi:[0,0,0] cbsz:4 blgp:4// 000000006C08: D3AC6800 18023F18 D3AD0CA4 8E92613C
	buffer_load_dwordx4 a[28:31], v43, s[12:15], 0 offen offset:1024// 000000006C18: E05C1400 80831C2B
	v_mfma_scale_f32_16x16x128_f8f6f4 v[168:171], a[60:63], v[56:59], v[168:171], v24, v31 op_sel_hi:[0,0,0] cbsz:4 blgp:4// 000000006C20: D3AC7800 18023F18 D3AD0CA8 8EA2713C
	ds_write_b64 v8, v[120:121] offset:4896                    // 000000006C30: D89A1320 00007808
	ds_write_b64 v8, v[122:123] offset:13600                   // 000000006C38: D89A3520 00007A08
	s_add_u32 s60, 0x200, s80                                  // 000000006C40: 803C50FF 00000200
	s_cmp_lt_u32 s60, s81                                      // 000000006C48: BF0A513C
	s_cselect_b32 s56, s56, 0                                  // 000000006C4C: 85388038
	s_cselect_b32 s78, s78, 0                                  // 000000006C50: 854E804E
	s_cselect_b32 s79, s79, 0                                  // 000000006C54: 854F804F
	s_add_u32 s12, s56, s12                                    // 000000006C58: 800C0C38
	s_addc_u32 s13, 0, s13                                     // 000000006C5C: 820D0D80
	s_add_u32 s16, s79, s16                                    // 000000006C60: 8010104F
	s_addc_u32 s17, 0, s17                                     // 000000006C64: 82111180
	v_mov_b32_e32 v2, v29                                      // 000000006C68: 7E04031D
	v_mov_b32_e32 v3, v29                                      // 000000006C6C: 7E06031D
	v_pk_mul_f32 v[140:141], v[2:3], v[140:141]                // 000000006C70: D3B1408C 18031902
	v_pk_mul_f32 v[142:143], v[2:3], v[142:143]                // 000000006C78: D3B1408E 18031D02
	v_pk_mul_f32 v[148:149], v[2:3], v[148:149]                // 000000006C80: D3B14094 18032902
	v_pk_mul_f32 v[150:151], v[2:3], v[150:151]                // 000000006C88: D3B14096 18032D02
	v_pk_mul_f32 v[156:157], v[2:3], v[156:157]                // 000000006C90: D3B1409C 18033902
	v_pk_mul_f32 v[158:159], v[2:3], v[158:159]                // 000000006C98: D3B1409E 18033D02
	v_pk_mul_f32 v[164:165], v[2:3], v[164:165]                // 000000006CA0: D3B140A4 18034902
	v_pk_mul_f32 v[166:167], v[2:3], v[166:167]                // 000000006CA8: D3B140A6 18034D02
	v_mov_b32_e32 v2, v30                                      // 000000006CB0: 7E04031E
	v_mov_b32_e32 v3, v30                                      // 000000006CB4: 7E06031E
	v_pk_mul_f32 v[144:145], v[2:3], v[144:145]                // 000000006CB8: D3B14090 18032102
	v_pk_mul_f32 v[146:147], v[2:3], v[146:147]                // 000000006CC0: D3B14092 18032502
	v_pk_mul_f32 v[152:153], v[2:3], v[152:153]                // 000000006CC8: D3B14098 18033102
	v_pk_mul_f32 v[154:155], v[2:3], v[154:155]                // 000000006CD0: D3B1409A 18033502
	v_pk_mul_f32 v[160:161], v[2:3], v[160:161]                // 000000006CD8: D3B140A0 18034102
	v_pk_mul_f32 v[162:163], v[2:3], v[162:163]                // 000000006CE0: D3B140A2 18034502
	v_pk_mul_f32 v[168:169], v[2:3], v[168:169]                // 000000006CE8: D3B140A8 18035102
	v_pk_mul_f32 v[170:171], v[2:3], v[170:171]                // 000000006CF0: D3B140AA 18035502
	v_cvt_pkrtz_f16_f32 v140, v140, v141                       // 000000006CF8: D296008C 00031B8C
	v_cvt_pkrtz_f16_f32 v141, v142, v143                       // 000000006D00: D296008D 00031F8E
	v_cvt_pkrtz_f16_f32 v142, v144, v145                       // 000000006D08: D296008E 00032390
	v_cvt_pkrtz_f16_f32 v143, v146, v147                       // 000000006D10: D296008F 00032792
	v_cvt_pkrtz_f16_f32 v144, v148, v149                       // 000000006D18: D2960090 00032B94
	v_cvt_pkrtz_f16_f32 v145, v150, v151                       // 000000006D20: D2960091 00032F96
	v_cvt_pkrtz_f16_f32 v146, v152, v153                       // 000000006D28: D2960092 00033398
	v_cvt_pkrtz_f16_f32 v147, v154, v155                       // 000000006D30: D2960093 0003379A
	v_cvt_pkrtz_f16_f32 v148, v156, v157                       // 000000006D38: D2960094 00033B9C
	v_cvt_pkrtz_f16_f32 v149, v158, v159                       // 000000006D40: D2960095 00033F9E
	v_cvt_pkrtz_f16_f32 v150, v160, v161                       // 000000006D48: D2960096 000343A0
	v_cvt_pkrtz_f16_f32 v151, v162, v163                       // 000000006D50: D2960097 000347A2
	v_cvt_pkrtz_f16_f32 v152, v164, v165                       // 000000006D58: D2960098 00034BA4
	v_cvt_pkrtz_f16_f32 v153, v166, v167                       // 000000006D60: D2960099 00034FA6
	v_cvt_pkrtz_f16_f32 v154, v168, v169                       // 000000006D68: D296009A 000353A8
	v_cvt_pkrtz_f16_f32 v155, v170, v171                       // 000000006D70: D296009B 000357AA
	s_cmp_ge_u32 s80, 0x200                                    // 000000006D78: BF09FF50 00000200
	s_cselect_b32 s59, 0x200, s59                              // 000000006D80: 853B3BFF 00000200
	s_mov_b64 exec, s[20:21]                                   // 000000006D88: BEFE0114
	global_atomic_pk_add_f16 v92, v76, s[8:9]                  // 000000006D8C: DD388000 00084C5C
	s_mov_b64 exec, s[36:37]                                   // 000000006D94: BEFE0124
	s_mov_b64 exec, s[20:21]                                   // 000000006D98: BEFE0114
	global_atomic_pk_add_f16 v92, v77, s[8:9] offset:256       // 000000006D9C: DD388100 00084D5C
	s_mov_b64 exec, s[36:37]                                   // 000000006DA4: BEFE0124
	s_mov_b64 exec, s[22:23]                                   // 000000006DA8: BEFE0116
	global_atomic_pk_add_f16 v94, v78, s[8:9]                  // 000000006DAC: DD388000 00084E5E
	s_mov_b64 exec, s[36:37]                                   // 000000006DB4: BEFE0124
	s_mov_b64 exec, s[22:23]                                   // 000000006DB8: BEFE0116
	global_atomic_pk_add_f16 v94, v79, s[8:9] offset:256       // 000000006DBC: DD388100 00084F5E
	s_mov_b64 exec, s[36:37]                                   // 000000006DC4: BEFE0124
	s_mov_b64 exec, s[24:25]                                   // 000000006DC8: BEFE0118
	global_atomic_pk_add_f16 v96, v80, s[8:9]                  // 000000006DCC: DD388000 00085060
	s_mov_b64 exec, s[36:37]                                   // 000000006DD4: BEFE0124
	s_mov_b64 exec, s[24:25]                                   // 000000006DD8: BEFE0118
	global_atomic_pk_add_f16 v96, v81, s[8:9] offset:256       // 000000006DDC: DD388100 00085160
	s_mov_b64 exec, s[36:37]                                   // 000000006DE4: BEFE0124
	s_mov_b64 exec, s[26:27]                                   // 000000006DE8: BEFE011A
	global_atomic_pk_add_f16 v98, v82, s[8:9]                  // 000000006DEC: DD388000 00085262
	s_mov_b64 exec, s[36:37]                                   // 000000006DF4: BEFE0124
	s_mov_b64 exec, s[26:27]                                   // 000000006DF8: BEFE011A
	global_atomic_pk_add_f16 v98, v83, s[8:9] offset:256       // 000000006DFC: DD388100 00085362
	s_mov_b64 exec, s[36:37]                                   // 000000006E04: BEFE0124
	s_mov_b64 exec, s[28:29]                                   // 000000006E08: BEFE011C
	global_atomic_pk_add_f16 v100, v84, s[8:9]                 // 000000006E0C: DD388000 00085464
	s_mov_b64 exec, s[36:37]                                   // 000000006E14: BEFE0124
	s_mov_b64 exec, s[28:29]                                   // 000000006E18: BEFE011C
	global_atomic_pk_add_f16 v100, v85, s[8:9] offset:256      // 000000006E1C: DD388100 00085564
	s_mov_b64 exec, s[36:37]                                   // 000000006E24: BEFE0124
	s_mov_b64 exec, s[30:31]                                   // 000000006E28: BEFE011E
	global_atomic_pk_add_f16 v102, v86, s[8:9]                 // 000000006E2C: DD388000 00085666
	s_mov_b64 exec, s[36:37]                                   // 000000006E34: BEFE0124
	s_mov_b64 exec, s[30:31]                                   // 000000006E38: BEFE011E
	global_atomic_pk_add_f16 v102, v87, s[8:9] offset:256      // 000000006E3C: DD388100 00085766
	s_mov_b64 exec, s[36:37]                                   // 000000006E44: BEFE0124
	s_mov_b64 exec, s[32:33]                                   // 000000006E48: BEFE0120
	global_atomic_pk_add_f16 v104, v88, s[8:9]                 // 000000006E4C: DD388000 00085868
	s_mov_b64 exec, s[36:37]                                   // 000000006E54: BEFE0124
	s_mov_b64 exec, s[32:33]                                   // 000000006E58: BEFE0120
	global_atomic_pk_add_f16 v104, v89, s[8:9] offset:256      // 000000006E5C: DD388100 00085968
	s_mov_b64 exec, s[36:37]                                   // 000000006E64: BEFE0124
	s_mov_b64 exec, s[34:35]                                   // 000000006E68: BEFE0122
	global_atomic_pk_add_f16 v106, v90, s[8:9]                 // 000000006E6C: DD388000 00085A6A
	s_mov_b64 exec, s[36:37]                                   // 000000006E74: BEFE0124
	s_mov_b64 exec, s[34:35]                                   // 000000006E78: BEFE0122
	global_atomic_pk_add_f16 v106, v91, s[8:9] offset:256      // 000000006E7C: DD388100 00085B6A
	s_mov_b64 exec, s[36:37]                                   // 000000006E84: BEFE0124
	s_add_u32 s8, s59, s8                                      // 000000006E88: 8008083B
	s_addc_u32 s9, 0, s9                                       // 000000006E8C: 82090980
	s_addk_i32 s80, 0x100                                      // 000000006E90: B7500100
	s_cmp_lt_i32 s80, s81                                      // 000000006E94: BF045150
	s_cbranch_scc0 label_092B                                  // 000000006E98: BF84F904
	s_branch label_0DE7                                        // 000000006E9C: BF82FDBF

0000000000006ea0 <label_1028>:
	s_cmp_ge_u32 s59, 0                                        // 000000006EA0: BF09803B
	s_cselect_b32 s59, 0x200, s59                              // 000000006EA4: 853B3BFF 00000200
	s_waitcnt lgkmcnt(0)                                       // 000000006EAC: BF8CC07F
	s_barrier                                                  // 000000006EB0: BF8A0000
	s_cmp_eq_u32 s64, 0x100                                    // 000000006EB4: BF06FF40 00000100
	s_cbranch_scc0 label_10A4                                  // 000000006EBC: BF840074
	ds_write_b64 v8, v[108:109]                                // 000000006EC0: D89A0000 00006C08
	ds_write_b64 v8, v[110:111] offset:8704                    // 000000006EC8: D89A2200 00006E08
	ds_write_b64 v8, v[112:113] offset:544                     // 000000006ED0: D89A0220 00007008
	ds_write_b64 v8, v[114:115] offset:9248                    // 000000006ED8: D89A2420 00007208
	ds_write_b64 v8, v[116:117] offset:4352                    // 000000006EE0: D89A1100 00007408
	ds_write_b64 v8, v[118:119] offset:13056                   // 000000006EE8: D89A3300 00007608
	ds_write_b64 v8, v[120:121] offset:4896                    // 000000006EF0: D89A1320 00007808
	ds_write_b64 v8, v[122:123] offset:13600                   // 000000006EF8: D89A3520 00007A08
	s_waitcnt lgkmcnt(0)                                       // 000000006F00: BF8CC07F
	s_barrier                                                  // 000000006F04: BF8A0000
	ds_read_b32 v76, v9                                        // 000000006F08: D86C0000 4C000009
	ds_read_b32 v77, v9 offset:4352                            // 000000006F10: D86C1100 4D000009
	ds_read_b32 v78, v9 offset:8                               // 000000006F18: D86C0008 4E000009
	ds_read_b32 v79, v9 offset:4360                            // 000000006F20: D86C1108 4F000009
	ds_read_b32 v80, v9 offset:32                              // 000000006F28: D86C0020 50000009
	ds_read_b32 v81, v9 offset:4384                            // 000000006F30: D86C1120 51000009
	ds_read_b32 v82, v9 offset:40                              // 000000006F38: D86C0028 52000009
	ds_read_b32 v83, v9 offset:4392                            // 000000006F40: D86C1128 53000009
	ds_read_b32 v84, v9 offset:8704                            // 000000006F48: D86C2200 54000009
	ds_read_b32 v85, v9 offset:13056                           // 000000006F50: D86C3300 55000009
	ds_read_b32 v86, v9 offset:8712                            // 000000006F58: D86C2208 56000009
	ds_read_b32 v87, v9 offset:13064                           // 000000006F60: D86C3308 57000009
	ds_read_b32 v88, v9 offset:8736                            // 000000006F68: D86C2220 58000009
	ds_read_b32 v89, v9 offset:13088                           // 000000006F70: D86C3320 59000009
	ds_read_b32 v90, v9 offset:8744                            // 000000006F78: D86C2228 5A000009
	ds_read_b32 v91, v9 offset:13096                           // 000000006F80: D86C3328 5B000009
	s_waitcnt lgkmcnt(0)                                       // 000000006F88: BF8CC07F
	s_mov_b64 exec, s[20:21]                                   // 000000006F8C: BEFE0114
	global_atomic_pk_add_f16 v92, v76, s[8:9]                  // 000000006F90: DD388000 00084C5C
	s_mov_b64 exec, s[36:37]                                   // 000000006F98: BEFE0124
	s_mov_b64 exec, s[20:21]                                   // 000000006F9C: BEFE0114
	global_atomic_pk_add_f16 v92, v77, s[8:9] offset:256       // 000000006FA0: DD388100 00084D5C
	s_mov_b64 exec, s[36:37]                                   // 000000006FA8: BEFE0124
	s_mov_b64 exec, s[22:23]                                   // 000000006FAC: BEFE0116
	global_atomic_pk_add_f16 v94, v78, s[8:9]                  // 000000006FB0: DD388000 00084E5E
	s_mov_b64 exec, s[36:37]                                   // 000000006FB8: BEFE0124
	s_mov_b64 exec, s[22:23]                                   // 000000006FBC: BEFE0116
	global_atomic_pk_add_f16 v94, v79, s[8:9] offset:256       // 000000006FC0: DD388100 00084F5E
	s_mov_b64 exec, s[36:37]                                   // 000000006FC8: BEFE0124
	s_mov_b64 exec, s[24:25]                                   // 000000006FCC: BEFE0118
	global_atomic_pk_add_f16 v96, v80, s[8:9]                  // 000000006FD0: DD388000 00085060
	s_mov_b64 exec, s[36:37]                                   // 000000006FD8: BEFE0124
	s_mov_b64 exec, s[24:25]                                   // 000000006FDC: BEFE0118
	global_atomic_pk_add_f16 v96, v81, s[8:9] offset:256       // 000000006FE0: DD388100 00085160
	s_mov_b64 exec, s[36:37]                                   // 000000006FE8: BEFE0124
	s_mov_b64 exec, s[26:27]                                   // 000000006FEC: BEFE011A
	global_atomic_pk_add_f16 v98, v82, s[8:9]                  // 000000006FF0: DD388000 00085262
	s_mov_b64 exec, s[36:37]                                   // 000000006FF8: BEFE0124
	s_mov_b64 exec, s[26:27]                                   // 000000006FFC: BEFE011A
	global_atomic_pk_add_f16 v98, v83, s[8:9] offset:256       // 000000007000: DD388100 00085362
	s_mov_b64 exec, s[36:37]                                   // 000000007008: BEFE0124
	s_mov_b64 exec, s[28:29]                                   // 00000000700C: BEFE011C
	global_atomic_pk_add_f16 v100, v84, s[8:9]                 // 000000007010: DD388000 00085464
	s_mov_b64 exec, s[36:37]                                   // 000000007018: BEFE0124
	s_mov_b64 exec, s[28:29]                                   // 00000000701C: BEFE011C
	global_atomic_pk_add_f16 v100, v85, s[8:9] offset:256      // 000000007020: DD388100 00085564
	s_mov_b64 exec, s[36:37]                                   // 000000007028: BEFE0124
	s_mov_b64 exec, s[30:31]                                   // 00000000702C: BEFE011E
	global_atomic_pk_add_f16 v102, v86, s[8:9]                 // 000000007030: DD388000 00085666
	s_mov_b64 exec, s[36:37]                                   // 000000007038: BEFE0124
	s_mov_b64 exec, s[30:31]                                   // 00000000703C: BEFE011E
	global_atomic_pk_add_f16 v102, v87, s[8:9] offset:256      // 000000007040: DD388100 00085766
	s_mov_b64 exec, s[36:37]                                   // 000000007048: BEFE0124
	s_mov_b64 exec, s[32:33]                                   // 00000000704C: BEFE0120
	global_atomic_pk_add_f16 v104, v88, s[8:9]                 // 000000007050: DD388000 00085868
	s_mov_b64 exec, s[36:37]                                   // 000000007058: BEFE0124
	s_mov_b64 exec, s[32:33]                                   // 00000000705C: BEFE0120
	global_atomic_pk_add_f16 v104, v89, s[8:9] offset:256      // 000000007060: DD388100 00085968
	s_mov_b64 exec, s[36:37]                                   // 000000007068: BEFE0124
	s_mov_b64 exec, s[34:35]                                   // 00000000706C: BEFE0122
	global_atomic_pk_add_f16 v106, v90, s[8:9]                 // 000000007070: DD388000 00085A6A
	s_mov_b64 exec, s[36:37]                                   // 000000007078: BEFE0124
	s_mov_b64 exec, s[34:35]                                   // 00000000707C: BEFE0122
	global_atomic_pk_add_f16 v106, v91, s[8:9] offset:256      // 000000007080: DD388100 00085B6A
	s_mov_b64 exec, s[36:37]                                   // 000000007088: BEFE0124
	s_branch label_117A                                        // 00000000708C: BF8200D6

0000000000007090 <label_10A4>:
	ds_read_b32 v76, v9                                        // 000000007090: D86C0000 4C000009
	ds_read_b32 v77, v9 offset:4352                            // 000000007098: D86C1100 4D000009
	ds_read_b32 v78, v9 offset:8                               // 0000000070A0: D86C0008 4E000009
	ds_read_b32 v79, v9 offset:4360                            // 0000000070A8: D86C1108 4F000009
	ds_read_b32 v80, v9 offset:32                              // 0000000070B0: D86C0020 50000009
	ds_read_b32 v81, v9 offset:4384                            // 0000000070B8: D86C1120 51000009
	ds_read_b32 v82, v9 offset:40                              // 0000000070C0: D86C0028 52000009
	ds_read_b32 v83, v9 offset:4392                            // 0000000070C8: D86C1128 53000009
	ds_read_b32 v84, v9 offset:8704                            // 0000000070D0: D86C2200 54000009
	ds_read_b32 v85, v9 offset:13056                           // 0000000070D8: D86C3300 55000009
	ds_read_b32 v86, v9 offset:8712                            // 0000000070E0: D86C2208 56000009
	ds_read_b32 v87, v9 offset:13064                           // 0000000070E8: D86C3308 57000009
	ds_read_b32 v88, v9 offset:8736                            // 0000000070F0: D86C2220 58000009
	ds_read_b32 v89, v9 offset:13088                           // 0000000070F8: D86C3320 59000009
	ds_read_b32 v90, v9 offset:8744                            // 000000007100: D86C2228 5A000009
	ds_read_b32 v91, v9 offset:13096                           // 000000007108: D86C3328 5B000009
	s_waitcnt lgkmcnt(0)                                       // 000000007110: BF8CC07F
	s_mov_b64 exec, s[20:21]                                   // 000000007114: BEFE0114
	global_atomic_pk_add_f16 v92, v76, s[8:9]                  // 000000007118: DD388000 00084C5C
	s_mov_b64 exec, s[36:37]                                   // 000000007120: BEFE0124
	s_mov_b64 exec, s[20:21]                                   // 000000007124: BEFE0114
	global_atomic_pk_add_f16 v92, v77, s[8:9] offset:256       // 000000007128: DD388100 00084D5C
	s_mov_b64 exec, s[36:37]                                   // 000000007130: BEFE0124
	s_mov_b64 exec, s[22:23]                                   // 000000007134: BEFE0116
	global_atomic_pk_add_f16 v94, v78, s[8:9]                  // 000000007138: DD388000 00084E5E
	s_mov_b64 exec, s[36:37]                                   // 000000007140: BEFE0124
	s_mov_b64 exec, s[22:23]                                   // 000000007144: BEFE0116
	global_atomic_pk_add_f16 v94, v79, s[8:9] offset:256       // 000000007148: DD388100 00084F5E
	s_mov_b64 exec, s[36:37]                                   // 000000007150: BEFE0124
	s_mov_b64 exec, s[24:25]                                   // 000000007154: BEFE0118
	global_atomic_pk_add_f16 v96, v80, s[8:9]                  // 000000007158: DD388000 00085060
	s_mov_b64 exec, s[36:37]                                   // 000000007160: BEFE0124
	s_mov_b64 exec, s[24:25]                                   // 000000007164: BEFE0118
	global_atomic_pk_add_f16 v96, v81, s[8:9] offset:256       // 000000007168: DD388100 00085160
	s_mov_b64 exec, s[36:37]                                   // 000000007170: BEFE0124
	s_mov_b64 exec, s[26:27]                                   // 000000007174: BEFE011A
	global_atomic_pk_add_f16 v98, v82, s[8:9]                  // 000000007178: DD388000 00085262
	s_mov_b64 exec, s[36:37]                                   // 000000007180: BEFE0124
	s_mov_b64 exec, s[26:27]                                   // 000000007184: BEFE011A
	global_atomic_pk_add_f16 v98, v83, s[8:9] offset:256       // 000000007188: DD388100 00085362
	s_mov_b64 exec, s[36:37]                                   // 000000007190: BEFE0124
	s_mov_b64 exec, s[28:29]                                   // 000000007194: BEFE011C
	global_atomic_pk_add_f16 v100, v84, s[8:9]                 // 000000007198: DD388000 00085464
	s_mov_b64 exec, s[36:37]                                   // 0000000071A0: BEFE0124
	s_mov_b64 exec, s[28:29]                                   // 0000000071A4: BEFE011C
	global_atomic_pk_add_f16 v100, v85, s[8:9] offset:256      // 0000000071A8: DD388100 00085564
	s_mov_b64 exec, s[36:37]                                   // 0000000071B0: BEFE0124
	s_mov_b64 exec, s[30:31]                                   // 0000000071B4: BEFE011E
	global_atomic_pk_add_f16 v102, v86, s[8:9]                 // 0000000071B8: DD388000 00085666
	s_mov_b64 exec, s[36:37]                                   // 0000000071C0: BEFE0124
	s_mov_b64 exec, s[30:31]                                   // 0000000071C4: BEFE011E
	global_atomic_pk_add_f16 v102, v87, s[8:9] offset:256      // 0000000071C8: DD388100 00085766
	s_mov_b64 exec, s[36:37]                                   // 0000000071D0: BEFE0124
	s_mov_b64 exec, s[32:33]                                   // 0000000071D4: BEFE0120
	global_atomic_pk_add_f16 v104, v88, s[8:9]                 // 0000000071D8: DD388000 00085868
	s_mov_b64 exec, s[36:37]                                   // 0000000071E0: BEFE0124
	s_mov_b64 exec, s[32:33]                                   // 0000000071E4: BEFE0120
	global_atomic_pk_add_f16 v104, v89, s[8:9] offset:256      // 0000000071E8: DD388100 00085968
	s_mov_b64 exec, s[36:37]                                   // 0000000071F0: BEFE0124
	s_mov_b64 exec, s[34:35]                                   // 0000000071F4: BEFE0122
	global_atomic_pk_add_f16 v106, v90, s[8:9]                 // 0000000071F8: DD388000 00085A6A
	s_mov_b64 exec, s[36:37]                                   // 000000007200: BEFE0124
	s_mov_b64 exec, s[34:35]                                   // 000000007204: BEFE0122
	global_atomic_pk_add_f16 v106, v91, s[8:9] offset:256      // 000000007208: DD388100 00085B6A
	s_mov_b64 exec, s[36:37]                                   // 000000007210: BEFE0124
	s_add_u32 s8, s59, s8                                      // 000000007214: 8008083B
	s_addc_u32 s9, 0, s9                                       // 000000007218: 82090980
	ds_write_b64 v8, v[140:141] offset:17408                   // 00000000721C: D89A4400 00008C08
	ds_write_b64 v8, v[142:143] offset:26112                   // 000000007224: D89A6600 00008E08
	ds_write_b64 v8, v[144:145] offset:17952                   // 00000000722C: D89A4620 00009008
	ds_write_b64 v8, v[146:147] offset:26656                   // 000000007234: D89A6820 00009208
	ds_write_b64 v8, v[148:149] offset:21760                   // 00000000723C: D89A5500 00009408
	ds_write_b64 v8, v[150:151] offset:30464                   // 000000007244: D89A7700 00009608
	ds_write_b64 v8, v[152:153] offset:22304                   // 00000000724C: D89A5720 00009808
	ds_write_b64 v8, v[154:155] offset:31008                   // 000000007254: D89A7920 00009A08
	s_waitcnt lgkmcnt(0)                                       // 00000000725C: BF8CC07F
	s_barrier                                                  // 000000007260: BF8A0000
	ds_read_b32 v76, v9 offset:17408                           // 000000007264: D86C4400 4C000009
	ds_read_b32 v77, v9 offset:21760                           // 00000000726C: D86C5500 4D000009
	ds_read_b32 v78, v9 offset:17416                           // 000000007274: D86C4408 4E000009
	ds_read_b32 v79, v9 offset:21768                           // 00000000727C: D86C5508 4F000009
	ds_read_b32 v80, v9 offset:17440                           // 000000007284: D86C4420 50000009
	ds_read_b32 v81, v9 offset:21792                           // 00000000728C: D86C5520 51000009
	ds_read_b32 v82, v9 offset:17448                           // 000000007294: D86C4428 52000009
	ds_read_b32 v83, v9 offset:21800                           // 00000000729C: D86C5528 53000009
	ds_read_b32 v84, v9 offset:26112                           // 0000000072A4: D86C6600 54000009
	ds_read_b32 v85, v9 offset:30464                           // 0000000072AC: D86C7700 55000009
	ds_read_b32 v86, v9 offset:26120                           // 0000000072B4: D86C6608 56000009
	ds_read_b32 v87, v9 offset:30472                           // 0000000072BC: D86C7708 57000009
	ds_read_b32 v88, v9 offset:26144                           // 0000000072C4: D86C6620 58000009
	ds_read_b32 v89, v9 offset:30496                           // 0000000072CC: D86C7720 59000009
	ds_read_b32 v90, v9 offset:26152                           // 0000000072D4: D86C6628 5A000009
	ds_read_b32 v91, v9 offset:30504                           // 0000000072DC: D86C7728 5B000009
	s_waitcnt lgkmcnt(0)                                       // 0000000072E4: BF8CC07F
	s_mov_b64 exec, s[20:21]                                   // 0000000072E8: BEFE0114
	global_atomic_pk_add_f16 v92, v76, s[8:9]                  // 0000000072EC: DD388000 00084C5C
	s_mov_b64 exec, s[36:37]                                   // 0000000072F4: BEFE0124
	s_mov_b64 exec, s[20:21]                                   // 0000000072F8: BEFE0114
	global_atomic_pk_add_f16 v92, v77, s[8:9] offset:256       // 0000000072FC: DD388100 00084D5C
	s_mov_b64 exec, s[36:37]                                   // 000000007304: BEFE0124
	s_mov_b64 exec, s[22:23]                                   // 000000007308: BEFE0116
	global_atomic_pk_add_f16 v94, v78, s[8:9]                  // 00000000730C: DD388000 00084E5E
	s_mov_b64 exec, s[36:37]                                   // 000000007314: BEFE0124
	s_mov_b64 exec, s[22:23]                                   // 000000007318: BEFE0116
	global_atomic_pk_add_f16 v94, v79, s[8:9] offset:256       // 00000000731C: DD388100 00084F5E
	s_mov_b64 exec, s[36:37]                                   // 000000007324: BEFE0124
	s_mov_b64 exec, s[24:25]                                   // 000000007328: BEFE0118
	global_atomic_pk_add_f16 v96, v80, s[8:9]                  // 00000000732C: DD388000 00085060
	s_mov_b64 exec, s[36:37]                                   // 000000007334: BEFE0124
	s_mov_b64 exec, s[24:25]                                   // 000000007338: BEFE0118
	global_atomic_pk_add_f16 v96, v81, s[8:9] offset:256       // 00000000733C: DD388100 00085160
	s_mov_b64 exec, s[36:37]                                   // 000000007344: BEFE0124
	s_mov_b64 exec, s[26:27]                                   // 000000007348: BEFE011A
	global_atomic_pk_add_f16 v98, v82, s[8:9]                  // 00000000734C: DD388000 00085262
	s_mov_b64 exec, s[36:37]                                   // 000000007354: BEFE0124
	s_mov_b64 exec, s[26:27]                                   // 000000007358: BEFE011A
	global_atomic_pk_add_f16 v98, v83, s[8:9] offset:256       // 00000000735C: DD388100 00085362
	s_mov_b64 exec, s[36:37]                                   // 000000007364: BEFE0124
	s_mov_b64 exec, s[28:29]                                   // 000000007368: BEFE011C
	global_atomic_pk_add_f16 v100, v84, s[8:9]                 // 00000000736C: DD388000 00085464
	s_mov_b64 exec, s[36:37]                                   // 000000007374: BEFE0124
	s_mov_b64 exec, s[28:29]                                   // 000000007378: BEFE011C
	global_atomic_pk_add_f16 v100, v85, s[8:9] offset:256      // 00000000737C: DD388100 00085564
	s_mov_b64 exec, s[36:37]                                   // 000000007384: BEFE0124
	s_mov_b64 exec, s[30:31]                                   // 000000007388: BEFE011E
	global_atomic_pk_add_f16 v102, v86, s[8:9]                 // 00000000738C: DD388000 00085666
	s_mov_b64 exec, s[36:37]                                   // 000000007394: BEFE0124
	s_mov_b64 exec, s[30:31]                                   // 000000007398: BEFE011E
	global_atomic_pk_add_f16 v102, v87, s[8:9] offset:256      // 00000000739C: DD388100 00085766
	s_mov_b64 exec, s[36:37]                                   // 0000000073A4: BEFE0124
	s_mov_b64 exec, s[32:33]                                   // 0000000073A8: BEFE0120
	global_atomic_pk_add_f16 v104, v88, s[8:9]                 // 0000000073AC: DD388000 00085868
	s_mov_b64 exec, s[36:37]                                   // 0000000073B4: BEFE0124
	s_mov_b64 exec, s[32:33]                                   // 0000000073B8: BEFE0120
	global_atomic_pk_add_f16 v104, v89, s[8:9] offset:256      // 0000000073BC: DD388100 00085968
	s_mov_b64 exec, s[36:37]                                   // 0000000073C4: BEFE0124
	s_mov_b64 exec, s[34:35]                                   // 0000000073C8: BEFE0122
	global_atomic_pk_add_f16 v106, v90, s[8:9]                 // 0000000073CC: DD388000 00085A6A
	s_mov_b64 exec, s[36:37]                                   // 0000000073D4: BEFE0124
	s_mov_b64 exec, s[34:35]                                   // 0000000073D8: BEFE0122
	global_atomic_pk_add_f16 v106, v91, s[8:9] offset:256      // 0000000073DC: DD388100 00085B6A
	s_mov_b64 exec, s[36:37]                                   // 0000000073E4: BEFE0124

00000000000073e8 <label_117A>:
	s_waitcnt vmcnt(0) expcnt(0) lgkmcnt(0)                    // 0000000073E8: BF8C0000
	s_endpgm                                                   // 0000000073EC: BF810000
